;; amdgpu-corpus repo=ROCm/aiter kind=harvested arch=n/a opt=n/a

/root/src/amdgpu-assembly/repos/ROCm__aiter/hsa/gfx950/pa/pa_bf16_pertokenFp8_gqa16_1tg_4w_mtp_msk0.co:	file format elf64-amdgpu

Disassembly of section .text:

0000000000002200 <_ZN5aiter41pa_bf16_pertokenFp8_gqa16_1tg_4w_mtp_msk0E>:
	s_and_b32 s1, s1, 0xffff                                   // 000000002200: 8601FF01 0000FFFF
	s_load_dwordx2 s[8:9], s[0:1], 0x0                         // 000000002208: C0060200 00000000
	s_load_dwordx2 s[12:13], s[0:1], 0x10                      // 000000002210: C0060300 00000010
	s_load_dwordx2 s[16:17], s[0:1], 0x20                      // 000000002218: C0060400 00000020
	s_load_dwordx2 s[20:21], s[0:1], 0x30                      // 000000002220: C0060500 00000030
	s_load_dwordx2 s[24:25], s[0:1], 0x40                      // 000000002228: C0060600 00000040
	s_load_dwordx2 s[28:29], s[0:1], 0x50                      // 000000002230: C0060700 00000050
	s_load_dwordx2 s[32:33], s[0:1], 0x60                      // 000000002238: C0060800 00000060
	s_load_dwordx2 s[36:37], s[0:1], 0x70                      // 000000002240: C0060900 00000070
	s_load_dword s64, s[0:1], 0x80                             // 000000002248: C0021000 00000080
	s_load_dword s65, s[0:1], 0x90                             // 000000002250: C0021040 00000090
	s_load_dword s66, s[0:1], 0xa0                             // 000000002258: C0021080 000000A0
	s_load_dword s74, s[0:1], 0xb0                             // 000000002260: C0021280 000000B0
	s_load_dword s68, s[0:1], 0xc0                             // 000000002268: C0021100 000000C0
	s_load_dword s69, s[0:1], 0xd0                             // 000000002270: C0021140 000000D0
	s_load_dword s77, s[0:1], 0xe0                             // 000000002278: C0021340 000000E0
	s_load_dwordx2 s[80:81], s[0:1], 0xf0                      // 000000002280: C0061400 000000F0
	v_lshrrev_b32_e32 v1, 10, v0                               // 000000002288: 2002008A
	v_lshrrev_b32_e32 v2, 10, v1                               // 00000000228C: 2004028A
	v_and_b32_e32 v2, 0x3ff, v2                                // 000000002290: 260404FF 000003FF
	v_and_b32_e32 v1, 0x3ff, v1                                // 000000002298: 260202FF 000003FF
	v_and_b32_e32 v0, 0x3ff, v0                                // 0000000022A0: 260000FF 000003FF
	v_lshrrev_b32_e32 v3, 6, v0                                // 0000000022A8: 20060086
	v_and_b32_e32 v0, 63, v0                                   // 0000000022AC: 260000BF
	s_mov_b32 s2, s2                                           // 0000000022B0: BE820002
	s_mov_b32 s3, s3                                           // 0000000022B4: BE830003
	s_mov_b32 s4, s4                                           // 0000000022B8: BE840004
	v_readfirstlane_b32 s7, v3                                 // 0000000022BC: 7E0E0503
	s_waitcnt lgkmcnt(0)                                       // 0000000022C0: BF8CC07F
	s_mul_i32 s67, 0x100, s77                                  // 0000000022C4: 92434DFF 00000100
	s_mul_i32 s76, 0x100, s77                                  // 0000000022CC: 924C4DFF 00000100
	s_mul_i32 s75, s66, s76                                    // 0000000022D4: 924B4C42
	s_mul_i32 s60, s3, 4                                       // 0000000022D8: 923C8403
	s_and_b32 s29, s29, 0xffff                                 // 0000000022DC: 861DFF1D 0000FFFF
	s_add_u32 s28, s60, s28                                    // 0000000022E4: 801C1C3C
	s_addc_u32 s29, 0, s29                                     // 0000000022E8: 821D1D80
	s_load_dword s72, s[28:29], 0x0                            // 0000000022EC: C002120E 00000000
	s_mul_i32 s60, s3, 4                                       // 0000000022F4: 923C8403
	s_and_b32 s81, s81, 0xffff                                 // 0000000022F8: 8651FF51 0000FFFF
	s_add_u32 s80, s60, s80                                    // 000000002300: 8050503C
	s_addc_u32 s81, 0, s81                                     // 000000002304: 82515180
	s_load_dword s84, s[80:81], 0x0                            // 000000002308: C0021528 00000000
	s_load_dword s85, s[80:81], 0x4                            // 000000002310: C0021568 00000004
	s_mov_b32 s10, s76                                         // 000000002318: BE8A004C
	s_mov_b32 s14, s67                                         // 00000000231C: BE8E0043
	s_mul_i32 s60, 4, s65                                      // 000000002320: 923C4184
	s_mov_b32 s26, s60                                         // 000000002324: BE9A003C
	s_mov_b32 s34, 0x80000000                                  // 000000002328: BEA200FF 80000000
	s_mov_b32 s38, 0x80000000                                  // 000000002330: BEA600FF 80000000
	s_mov_b32 s18, 0x80000000                                  // 000000002338: BE9200FF 80000000
	s_mov_b32 s22, 0x80000000                                  // 000000002340: BE9600FF 80000000
	s_mov_b32 s11, 0x20000                                     // 000000002348: BE8B00FF 00020000
	s_mov_b32 s15, 0x20000                                     // 000000002350: BE8F00FF 00020000
	s_mov_b32 s19, 0x20000                                     // 000000002358: BE9300FF 00020000
	s_mov_b32 s23, 0x20000                                     // 000000002360: BE9700FF 00020000
	s_mov_b32 s27, 0x20000                                     // 000000002368: BE9B00FF 00020000
	s_mov_b32 s35, 0x20000                                     // 000000002370: BEA300FF 00020000
	s_mov_b32 s39, 0x20000                                     // 000000002378: BEA700FF 00020000
	s_and_b32 s9, s9, 0xffff                                   // 000000002380: 8609FF09 0000FFFF
	s_and_b32 s13, s13, 0xffff                                 // 000000002388: 860DFF0D 0000FFFF
	s_and_b32 s17, s17, 0xffff                                 // 000000002390: 8611FF11 0000FFFF
	s_and_b32 s21, s21, 0xffff                                 // 000000002398: 8615FF15 0000FFFF
	s_and_b32 s25, s25, 0xffff                                 // 0000000023A0: 8619FF19 0000FFFF
	s_and_b32 s33, s33, 0xffff                                 // 0000000023A8: 8621FF21 0000FFFF
	s_and_b32 s37, s37, 0xffff                                 // 0000000023B0: 8625FF25 0000FFFF
	s_or_b32 s9, s9, 0x40000                                   // 0000000023B8: 8709FF09 00040000
	s_or_b32 s13, s13, 0x40000                                 // 0000000023C0: 870DFF0D 00040000
	s_or_b32 s17, s17, 0x40000                                 // 0000000023C8: 8711FF11 00040000
	s_or_b32 s21, s21, 0x40000                                 // 0000000023D0: 8715FF15 00040000
	s_or_b32 s25, s25, 0x40000                                 // 0000000023D8: 8719FF19 00040000
	s_or_b32 s33, s33, 0x40000                                 // 0000000023E0: 8721FF21 00040000
	s_or_b32 s37, s37, 0x40000                                 // 0000000023E8: 8725FF25 00040000
	v_accvgpr_write_b32 a127, 0                                // 0000000023F0: D3D9407F 18000080
	v_mov_b32_e32 v255, 0                                      // 0000000023F8: 7FFE0280
	s_waitcnt lgkmcnt(0)                                       // 0000000023FC: BF8CC07F
	s_sub_u32 s86, s85, s84                                    // 000000002400: 80D65455
	s_mov_b32 s60, 2                                           // 000000002404: BEBC0082
	s_cmp_eq_i32 s60, s86                                      // 000000002408: BF00563C
	s_cbranch_scc1 label_1109                                  // 00000000240C: BF851085
	s_mov_b32 s60, 3                                           // 000000002410: BEBC0083
	s_cmp_eq_i32 s60, s86                                      // 000000002414: BF00563C
	s_cbranch_scc1 label_2F64                                  // 000000002418: BF852EDD
	s_mov_b32 s60, 4                                           // 00000000241C: BEBC0084
	s_cmp_eq_i32 s60, s86                                      // 000000002420: BF00563C
	s_cbranch_scc1 label_5BC9                                  // 000000002424: BF855B3F
	s_mul_i32 s60, s3, s65                                     // 000000002428: 923C4103
	s_mul_i32 s60, s60, 4                                      // 00000000242C: 923C843C
	s_add_u32 s24, s60, s24                                    // 000000002430: 8018183C
	s_addc_u32 s25, 0, s25                                     // 000000002434: 82191980
	s_mov_b32 s56, 64                                          // 000000002438: BEB800C0
	s_add_u32 s73, s72, 15                                     // 00000000243C: 80498F48
	s_lshr_b32 s73, s73, 4                                     // 000000002440: 8F498449
	s_mul_i32 s60, s73, 4                                      // 000000002444: 923C8449
	s_mov_b32 s26, s60                                         // 000000002448: BE9A003C
	v_and_b32_e32 v65, 3, v0                                   // 00000000244C: 26820083
	v_cmp_eq_u32_e64 s[60:61], 0, v65                          // 000000002450: D0CA003C 00028280
	v_and_b32_e32 v64, 12, v0                                  // 000000002458: 2680008C
	v_add_u32_e32 v1, s7, v64                                  // 00000000245C: 68028007
	v_cndmask_b32_e64 v1, 0, v1, s[60:61]                      // 000000002460: D1000001 00F20280
	v_and_b32_e32 v65, 3, v0                                   // 000000002468: 26820083
	v_cmp_eq_u32_e64 s[60:61], 1, v65                          // 00000000246C: D0CA003C 00028281
	v_lshrrev_b32_e32 v64, 4, v0                               // 000000002474: 20800084
	v_and_b32_e32 v65, 12, v0                                  // 000000002478: 2682008C
	v_add_u32_e32 v64, v65, v64                                // 00000000247C: 68808141
	v_cndmask_b32_e64 v64, 0, v64, s[60:61]                    // 000000002480: D1000040 00F28080
	v_add_u32_e32 v1, v1, v64                                  // 000000002488: 68028101
	v_lshlrev_b32_e32 v1, 2, v1                                // 00000000248C: 24020282
	buffer_load_dword v16, v1, s[24:27], 0 offen               // 000000002490: E0501000 80061001
	v_add_u32_e32 v1, s56, v1                                  // 000000002498: 68020238
	buffer_load_dword v17, v1, s[24:27], 0 offen               // 00000000249C: E0501000 80061101
	s_cmp_le_u32 s73, 32                                       // 0000000024A4: BF0BA049
	s_cselect_b32 s56, 0, s56                                  // 0000000024A8: 85383880
	s_mul_i32 s60, s2, s67                                     // 0000000024AC: 923C4302
	s_mul_i32 s61, s84, s74                                    // 0000000024B0: 923D4A54
	s_add_u32 s60, s60, s61                                    // 0000000024B4: 803C3D3C
	s_add_u32 s12, s60, s12                                    // 0000000024B8: 800C0C3C
	s_addc_u32 s13, 0, s13                                     // 0000000024BC: 820D0D80
	s_mul_i32 s60, s7, 0x108                                   // 0000000024C0: 923CFF07 00000108
	s_add_u32 m0, 0, s60                                       // 0000000024C8: 807C3C80
	s_mul_i32 s60, s7, 0x100                                   // 0000000024CC: 923CFF07 00000100
	v_lshlrev_b32_e32 v64, 2, v0                               // 0000000024D4: 24800082
	v_add_u32_e64 v64, v64, s60                                // 0000000024D8: D1340040 00007940
	buffer_load_dword v64, s[12:15], 0 offen lds               // 0000000024E0: E0511000 80030040
	s_mul_i32 s60, 4, 0x108                                    // 0000000024E8: 923CFF84 00000108
	s_add_u32 m0, m0, s60                                      // 0000000024F0: 807C3C7C
	v_add_u32_e32 v64, 0x400, v64                              // 0000000024F4: 688080FF 00000400
	buffer_load_dword v64, s[12:15], 0 offen lds               // 0000000024FC: E0511000 80030040
	s_mul_i32 s60, 4, 0x108                                    // 000000002504: 923CFF84 00000108
	s_add_u32 m0, m0, s60                                      // 00000000250C: 807C3C7C
	v_add_u32_e32 v64, 0x400, v64                              // 000000002510: 688080FF 00000400
	buffer_load_dword v64, s[12:15], 0 offen lds               // 000000002518: E0511000 80030040
	s_mul_i32 s60, 4, 0x108                                    // 000000002520: 923CFF84 00000108
	s_add_u32 m0, m0, s60                                      // 000000002528: 807C3C7C
	v_add_u32_e32 v64, 0x400, v64                              // 00000000252C: 688080FF 00000400
	buffer_load_dword v64, s[12:15], 0 offen lds               // 000000002534: E0511000 80030040
	s_mul_i32 s60, 4, 0x108                                    // 00000000253C: 923CFF84 00000108
	s_add_u32 m0, m0, s60                                      // 000000002544: 807C3C7C
	v_add_u32_e32 v64, 0x400, v64                              // 000000002548: 688080FF 00000400
	v_lshrrev_b32_e32 v64, 4, v0                               // 000000002550: 20800084
	v_lshlrev_b32_e32 v64, 2, v64                              // 000000002554: 24808082
	v_and_b32_e32 v65, 3, v0                                   // 000000002558: 26820083
	v_add_u32_e32 v64, v65, v64                                // 00000000255C: 68808141
	v_lshlrev_b32_e32 v59, 2, v64                              // 000000002560: 24768082
	v_mov_b32_e32 v60, v59                                     // 000000002564: 7E78033B
	s_mul_i32 s60, s2, 64                                      // 000000002568: 923CC002
	s_add_u32 s32, s60, s32                                    // 00000000256C: 8020203C
	s_addc_u32 s33, 0, s33                                     // 000000002570: 82212180
	s_add_u32 s36, s60, s36                                    // 000000002574: 8024243C
	s_addc_u32 s37, 0, s37                                     // 000000002578: 82252580
	s_mul_i32 s60, s2, s76                                     // 00000000257C: 923C4C02
	s_mul_i32 s61, s84, s75                                    // 000000002580: 923D4B54
	s_add_u32 s60, s60, s61                                    // 000000002584: 803C3D3C
	s_add_u32 s8, s60, s8                                      // 000000002588: 8008083C
	s_addc_u32 s9, 0, s9                                       // 00000000258C: 82090980
	s_mov_b32 s70, 0                                           // 000000002590: BEC60080
	s_and_b32 s71, s72, 0xffffff00                             // 000000002594: 8647FF48 FFFFFF00
	s_mov_b32 s42, 0xff00ff00                                  // 00000000259C: BEAA00FF FF00FF00
	s_mov_b32 s43, 0xff00ff00                                  // 0000000025A4: BEAB00FF FF00FF00
	s_mov_b32 s44, 0xf0f0f0f0                                  // 0000000025AC: BEAC00FF F0F0F0F0
	s_mov_b32 s45, 0xf0f0f0f0                                  // 0000000025B4: BEAD00FF F0F0F0F0
	s_mov_b32 s78, 0xff00ff                                    // 0000000025BC: BECE00FF 00FF00FF
	s_mov_b32 s79, 0xff00ff                                    // 0000000025C4: BECF00FF 00FF00FF
	v_mul_i32_i24_e64 v63, 64, s66                             // 0000000025CC: D106003F 000084C0
	v_mov_b32_e32 v54, s68                                     // 0000000025D4: 7E6C0244
	s_mov_b32 s52, 0x7060302                                   // 0000000025D8: BEB400FF 07060302
	s_mov_b32 s53, 0x400                                       // 0000000025E0: BEB500FF 00000400
	s_mov_b32 s54, 0x40100                                     // 0000000025E8: BEB600FF 00040100
	s_mov_b32 s55, 0x4020100                                   // 0000000025F0: BEB700FF 04020100
	s_mov_b32 s6, 0x3fb8aa3b                                   // 0000000025F8: BE8600FF 3FB8AA3B
	v_mov_b32_e32 v11, 0xff800000                              // 000000002600: 7E1602FF FF800000
	v_mov_b32_e32 v49, 0                                       // 000000002608: 7E620280
	v_mov_b32_e32 v38, 0                                       // 00000000260C: 7E4C0280
	v_mov_b32_e32 v44, 0                                       // 000000002610: 7E580280
	v_add_u32_e32 v1, s56, v1                                  // 000000002614: 68020238
	v_and_b32_e32 v7, 15, v0                                   // 000000002618: 260E008F
	v_lshlrev_b32_e32 v7, 2, v7                                // 00000000261C: 240E0E82
	v_lshlrev_b32_e32 v8, 2, v0                                // 000000002620: 24100082
	s_mul_i32 s60, 0x100, s7                                   // 000000002624: 923C07FF 00000100
	v_add_u32_e32 v8, s60, v8                                  // 00000000262C: 6810103C
	v_lshrrev_b32_e32 v64, 4, v0                               // 000000002630: 20800084
	v_lshlrev_b32_e32 v65, 6, v64                              // 000000002634: 24828086
	v_and_b32_e32 v64, 15, v0                                  // 000000002638: 2680008F
	v_lshlrev_b32_e32 v64, 1, v64                              // 00000000263C: 24808081
	v_add_u32_e32 v65, v64, v65                                // 000000002640: 68828340
	v_lshlrev_b32_e32 v9, 2, v65                               // 000000002644: 24128282
	v_lshrrev_b32_e32 v64, 5, v0                               // 000000002648: 20800085
	v_lshlrev_b32_e32 v65, 5, v64                              // 00000000264C: 24828085
	v_and_b32_e32 v64, 31, v0                                  // 000000002650: 2680009F
	v_lshrrev_b32_e32 v66, 4, v64                              // 000000002654: 20848084
	v_add_u32_e32 v65, v66, v65                                // 000000002658: 68828342
	v_and_b32_e32 v64, 15, v0                                  // 00000000265C: 2680008F
	v_lshlrev_b32_e32 v64, 1, v64                              // 000000002660: 24808081
	v_add_u32_e32 v65, v64, v65                                // 000000002664: 68828340
	v_lshlrev_b32_e32 v64, 2, v65                              // 000000002668: 24808282
	s_mul_i32 s60, 0x100, s7                                   // 00000000266C: 923C07FF 00000100
	v_add_u32_e64 v10, v64, s60                                // 000000002674: D134000A 00007940
	v_lshlrev_b32_e32 v5, 4, v0                                // 00000000267C: 240A0084
	s_mul_i32 s60, s2, s69                                     // 000000002680: 923C4502
	s_add_u32 s16, s60, s16                                    // 000000002684: 8010103C
	s_addc_u32 s17, 0, s17                                     // 000000002688: 82111180
	v_and_b32_e32 v64, 15, v0                                  // 00000000268C: 2680008F
	v_lshlrev_b32_e32 v6, 4, v64                               // 000000002690: 240C8084
	s_mul_i32 s61, s2, s69                                     // 000000002694: 923D4502
	s_mul_i32 s60, s7, 0x100                                   // 000000002698: 923CFF07 00000100
	s_add_u32 s60, s60, s61                                    // 0000000026A0: 803C3D3C
	s_add_u32 s20, s60, s20                                    // 0000000026A4: 8014143C
	s_addc_u32 s21, 0, s21                                     // 0000000026A8: 82151580
	s_waitcnt vmcnt(4)                                         // 0000000026AC: BF8C0F74
	v_mul_u32_u24_dpp v64, v16, v54 row_newbcast:0 row_mask:0xf bank_mask:0xf// 0000000026B0: 10806CFA FF015010
	v_mul_u32_u24_dpp v65, v16, v54 row_newbcast:4 row_mask:0xf bank_mask:0xf// 0000000026B8: 10826CFA FF015410
	v_mul_u32_u24_dpp v66, v16, v54 row_newbcast:8 row_mask:0xf bank_mask:0xf// 0000000026C0: 10846CFA FF015810
	v_mul_u32_u24_dpp v67, v16, v54 row_newbcast:12 row_mask:0xf bank_mask:0xf// 0000000026C8: 10866CFA FF015C10
	v_add_u32_e32 v22, v64, v5                                 // 0000000026D0: 682C0B40
	v_add_u32_e32 v23, v65, v5                                 // 0000000026D4: 682E0B41
	v_add_u32_e32 v24, v66, v5                                 // 0000000026D8: 68300B42
	v_add_u32_e32 v25, v67, v5                                 // 0000000026DC: 68320B43
	v_mul_u32_u24_dpp v64, v16, v54 row_newbcast:1 row_mask:0xf bank_mask:0xf// 0000000026E0: 10806CFA FF015110
	v_mul_u32_u24_dpp v65, v16, v54 row_newbcast:5 row_mask:0xf bank_mask:0xf// 0000000026E8: 10826CFA FF015510
	v_mul_u32_u24_dpp v66, v16, v54 row_newbcast:9 row_mask:0xf bank_mask:0xf// 0000000026F0: 10846CFA FF015910
	v_mul_u32_u24_dpp v67, v16, v54 row_newbcast:13 row_mask:0xf bank_mask:0xf// 0000000026F8: 10866CFA FF015D10
	v_add_u32_e32 v30, v64, v6                                 // 000000002700: 683C0D40
	v_add_u32_e32 v31, v65, v6                                 // 000000002704: 683E0D41
	v_add_u32_e32 v32, v66, v6                                 // 000000002708: 68400D42
	v_add_u32_e32 v33, v67, v6                                 // 00000000270C: 68420D43
	v_mul_u32_u24_dpp v64, v16, v63 quad_perm:[0,0,0,0] row_mask:0xf bank_mask:0xf// 000000002710: 10807EFA FF000010
	v_add_u32_e32 v2, v64, v59                                 // 000000002718: 68047740
	v_mul_u32_u24_dpp v64, v16, v63 quad_perm:[0,0,0,0] row_mask:0xf bank_mask:0xf// 00000000271C: 10807EFA FF000010
	v_add_u32_e32 v55, v64, v60                                // 000000002724: 686E7940
	buffer_load_dword v42, v2, s[32:35], 0 offen               // 000000002728: E0501000 80082A02
	buffer_load_dwordx4 a[0:3], v22, s[16:19], 0 offen         // 000000002730: E05C1000 80840016
	buffer_load_dwordx4 a[4:7], v22, s[16:19], 0 offen offset:1024// 000000002738: E05C1400 80840416
	buffer_load_dwordx4 a[8:11], v23, s[16:19], 0 offen        // 000000002740: E05C1000 80840817
	buffer_load_dwordx4 a[12:15], v23, s[16:19], 0 offen offset:1024// 000000002748: E05C1400 80840C17
	buffer_load_dwordx4 a[16:19], v24, s[16:19], 0 offen       // 000000002750: E05C1000 80841018
	buffer_load_dwordx4 a[20:23], v24, s[16:19], 0 offen offset:1024// 000000002758: E05C1400 80841418
	buffer_load_dwordx4 a[24:27], v25, s[16:19], 0 offen       // 000000002760: E05C1000 80841819
	buffer_load_dwordx4 a[28:31], v25, s[16:19], 0 offen offset:1024// 000000002768: E05C1400 80841C19
	buffer_load_dword v57, v55, s[36:39], 0 offen              // 000000002770: E0501000 80093937
	buffer_load_dwordx4 a[64:67], v30, s[20:23], 0 offen       // 000000002778: E05C1000 8085401E
	buffer_load_dwordx4 a[68:71], v31, s[20:23], 0 offen       // 000000002780: E05C1000 8085441F
	buffer_load_dwordx4 a[72:75], v32, s[20:23], 0 offen       // 000000002788: E05C1000 80854820
	buffer_load_dwordx4 a[76:79], v33, s[20:23], 0 offen       // 000000002790: E05C1000 80854C21
	buffer_load_dwordx4 a[80:83], v30, s[20:23], 0 offen offset:1024// 000000002798: E05C1400 8085501E
	buffer_load_dwordx4 a[84:87], v31, s[20:23], 0 offen offset:1024// 0000000027A0: E05C1400 8085541F
	buffer_load_dwordx4 a[88:91], v32, s[20:23], 0 offen offset:1024// 0000000027A8: E05C1400 80855820
	buffer_load_dwordx4 a[92:95], v33, s[20:23], 0 offen offset:1024// 0000000027B0: E05C1400 80855C21
	v_lshrrev_b32_e32 v64, 4, v0                               // 0000000027B8: 20800084
	v_lshlrev_b32_e32 v65, 1, v64                              // 0000000027BC: 24828081
	v_and_b32_e32 v64, 15, v0                                  // 0000000027C0: 2680008F
	v_mul_i32_i24_e32 v64, 0x42, v64                           // 0000000027C4: 0C8080FF 00000042
	v_add_u32_e32 v65, v64, v65                                // 0000000027CC: 68828340
	v_lshlrev_b32_e32 v4, 2, v65                               // 0000000027D0: 24088282
	s_mul_i32 s60, s7, 32                                      // 0000000027D4: 923CA007
	v_add_u32_e32 v4, s60, v4                                  // 0000000027D8: 6808083C
	s_waitcnt vmcnt(16) lgkmcnt(0)                             // 0000000027DC: BF8C4070
	s_barrier                                                  // 0000000027E0: BF8A0000
	ds_read_b64 v[80:81], v4                                   // 0000000027E4: D8EC0000 50000004
	ds_read_b64 v[84:85], v4 offset:128                        // 0000000027EC: D8EC0080 54000004
	s_waitcnt lgkmcnt(0)                                       // 0000000027F4: BF8CC07F
	v_and_b32_e32 v83, 0xffff0000, v81                         // 0000000027F8: 26A6A2FF FFFF0000
	v_lshlrev_b32_e32 v82, 16, v81                             // 000000002800: 24A4A290
	v_and_b32_e32 v81, 0xffff0000, v80                         // 000000002804: 26A2A0FF FFFF0000
	v_lshlrev_b32_e32 v80, 16, v80                             // 00000000280C: 24A0A090
	v_and_b32_e32 v87, 0xffff0000, v85                         // 000000002810: 26AEAAFF FFFF0000
	v_lshlrev_b32_e32 v86, 16, v85                             // 000000002818: 24ACAA90
	v_and_b32_e32 v85, 0xffff0000, v84                         // 00000000281C: 26AAA8FF FFFF0000
	v_lshlrev_b32_e32 v84, 16, v84                             // 000000002824: 24A8A890
	v_mov_b32_e32 v48, 0x358637bd                              // 000000002828: 7E6002FF 358637BD
	v_max3_f32 v48, |v80|, |v81|, v48                          // 000000002830: D1D30330 04C2A350
	v_max3_f32 v48, |v82|, |v83|, v48                          // 000000002838: D1D30330 04C2A752
	v_max3_f32 v48, |v84|, |v85|, v48                          // 000000002840: D1D30330 04C2AB54
	v_max3_f32 v48, |v86|, |v87|, v48                          // 000000002848: D1D30330 04C2AF56
	ds_write_b32 v8, v48 offset:16896                          // 000000002850: D81A4200 00003008
	s_waitcnt lgkmcnt(0)                                       // 000000002858: BF8CC07F
	s_barrier                                                  // 00000000285C: BF8A0000
	ds_read_b32 v64, v7 offset:16896                           // 000000002860: D86C4200 40000007
	ds_read_b32 v65, v7 offset:16960                           // 000000002868: D86C4240 41000007
	ds_read_b32 v66, v7 offset:17024                           // 000000002870: D86C4280 42000007
	ds_read_b32 v67, v7 offset:17088                           // 000000002878: D86C42C0 43000007
	ds_read_b32 v68, v7 offset:17152                           // 000000002880: D86C4300 44000007
	ds_read_b32 v69, v7 offset:17216                           // 000000002888: D86C4340 45000007
	ds_read_b32 v70, v7 offset:17280                           // 000000002890: D86C4380 46000007
	ds_read_b32 v71, v7 offset:17344                           // 000000002898: D86C43C0 47000007
	ds_read_b32 v72, v7 offset:17408                           // 0000000028A0: D86C4400 48000007
	ds_read_b32 v73, v7 offset:17472                           // 0000000028A8: D86C4440 49000007
	ds_read_b32 v74, v7 offset:17536                           // 0000000028B0: D86C4480 4A000007
	ds_read_b32 v75, v7 offset:17600                           // 0000000028B8: D86C44C0 4B000007
	ds_read_b32 v76, v7 offset:17664                           // 0000000028C0: D86C4500 4C000007
	ds_read_b32 v77, v7 offset:17728                           // 0000000028C8: D86C4540 4D000007
	ds_read_b32 v78, v7 offset:17792                           // 0000000028D0: D86C4580 4E000007
	ds_read_b32 v79, v7 offset:17856                           // 0000000028D8: D86C45C0 4F000007
	s_waitcnt lgkmcnt(0)                                       // 0000000028E0: BF8CC07F
	v_max3_f32 v48, |v64|, |v65|, v48                          // 0000000028E4: D1D30330 04C28340
	v_max3_f32 v48, |v66|, |v67|, v48                          // 0000000028EC: D1D30330 04C28742
	v_max3_f32 v48, |v68|, |v69|, v48                          // 0000000028F4: D1D30330 04C28B44
	v_max3_f32 v48, |v70|, |v71|, v48                          // 0000000028FC: D1D30330 04C28F46
	v_max3_f32 v48, |v72|, |v73|, v48                          // 000000002904: D1D30330 04C29348
	v_max3_f32 v48, |v74|, |v75|, v48                          // 00000000290C: D1D30330 04C2974A
	v_max3_f32 v48, |v76|, |v77|, v48                          // 000000002914: D1D30330 04C29B4C
	v_max3_f32 v48, |v78|, |v79|, v48                          // 00000000291C: D1D30330 04C29F4E
	v_rcp_f32_e32 v48, v48                                     // 000000002924: 7E604530
	s_nop 1                                                    // 000000002928: BF800001
	v_mul_f32_e32 v48, 0x43e00000, v48                         // 00000000292C: 0A6060FF 43E00000
	v_mul_f32_e32 v80, v48, v80                                // 000000002934: 0AA0A130
	v_mul_f32_e32 v81, v48, v81                                // 000000002938: 0AA2A330
	v_mul_f32_e32 v82, v48, v82                                // 00000000293C: 0AA4A530
	v_mul_f32_e32 v83, v48, v83                                // 000000002940: 0AA6A730
	v_mul_f32_e32 v84, v48, v84                                // 000000002944: 0AA8A930
	v_mul_f32_e32 v85, v48, v85                                // 000000002948: 0AAAAB30
	v_mul_f32_e32 v86, v48, v86                                // 00000000294C: 0AACAD30
	v_mul_f32_e32 v87, v48, v87                                // 000000002950: 0AAEAF30
	v_rcp_f32_e32 v18, v48                                     // 000000002954: 7E244530
	v_cvt_pk_fp8_f32 v80, v80, v81                             // 000000002958: D2A20050 0002A350
	v_cvt_pk_fp8_f32 v80, v82, v83 op_sel:[0,0,1]              // 000000002960: D2A24050 0002A752
	v_cvt_pk_fp8_f32 v81, v84, v85                             // 000000002968: D2A20051 0002AB54
	v_cvt_pk_fp8_f32 v81, v86, v87 op_sel:[0,0,1]              // 000000002970: D2A24051 0002AF56
	ds_write_b32 v10, v80 offset:25088                         // 000000002978: D81A6200 0000500A
	ds_write_b32 v10, v81 offset:26112                         // 000000002980: D81A6600 0000510A
	s_waitcnt lgkmcnt(0)                                       // 000000002988: BF8CC07F
	s_barrier                                                  // 00000000298C: BF8A0000
	ds_read_b64 v[80:81], v9 offset:25088                      // 000000002990: D8EC6200 50000009
	ds_read_b64 v[82:83], v9 offset:25216                      // 000000002998: D8EC6280 52000009
	ds_read_b64 v[84:85], v9 offset:26112                      // 0000000029A0: D8EC6600 54000009
	ds_read_b64 v[86:87], v9 offset:26240                      // 0000000029A8: D8EC6680 56000009
	v_mov_b32_e32 v208, 0                                      // 0000000029B0: 7FA00280
	v_mov_b32_e32 v209, 0                                      // 0000000029B4: 7FA20280
	v_mov_b32_e32 v210, 0                                      // 0000000029B8: 7FA40280
	v_mov_b32_e32 v211, 0                                      // 0000000029BC: 7FA60280
	v_mov_b32_e32 v212, 0                                      // 0000000029C0: 7FA80280
	v_mov_b32_e32 v213, 0                                      // 0000000029C4: 7FAA0280
	v_mov_b32_e32 v214, 0                                      // 0000000029C8: 7FAC0280
	v_mov_b32_e32 v215, 0                                      // 0000000029CC: 7FAE0280
	v_mov_b32_e32 v176, 0                                      // 0000000029D0: 7F600280
	v_mov_b32_e32 v177, 0                                      // 0000000029D4: 7F620280
	v_mov_b32_e32 v178, 0                                      // 0000000029D8: 7F640280
	v_mov_b32_e32 v179, 0                                      // 0000000029DC: 7F660280
	v_mov_b32_e32 v180, 0                                      // 0000000029E0: 7F680280
	v_mov_b32_e32 v181, 0                                      // 0000000029E4: 7F6A0280
	v_mov_b32_e32 v182, 0                                      // 0000000029E8: 7F6C0280
	v_mov_b32_e32 v183, 0                                      // 0000000029EC: 7F6E0280
	s_waitcnt vmcnt(8) lgkmcnt(0)                              // 0000000029F0: BF8C0078
	s_barrier                                                  // 0000000029F4: BF8A0000
	s_cmp_lt_u32 s73, 16                                       // 0000000029F8: BF0A9049
	s_cbranch_scc1 label_0B3F                                  // 0000000029FC: BF85093F
	s_cmp_lt_i32 s7, 2                                         // 000000002A00: BF048207
	s_cbranch_scc0 label_06A2                                  // 000000002A04: BF8404A0

0000000000002a08 <label_0202>:
	s_waitcnt vmcnt(8) lgkmcnt(0)                              // 000000002A08: BF8C0078
	v_mul_u32_u24_dpp v64, v17, v54 row_newbcast:0 row_mask:0xf bank_mask:0xf// 000000002A0C: 10806CFA FF015011
	v_mul_u32_u24_dpp v65, v17, v54 row_newbcast:4 row_mask:0xf bank_mask:0xf// 000000002A14: 10826CFA FF015411
	v_mul_u32_u24_dpp v66, v17, v54 row_newbcast:8 row_mask:0xf bank_mask:0xf// 000000002A1C: 10846CFA FF015811
	v_mul_u32_u24_dpp v67, v17, v54 row_newbcast:12 row_mask:0xf bank_mask:0xf// 000000002A24: 10866CFA FF015C11
	v_add_u32_e32 v26, v64, v5                                 // 000000002A2C: 68340B40
	v_add_u32_e32 v27, v65, v5                                 // 000000002A30: 68360B41
	v_add_u32_e32 v28, v66, v5                                 // 000000002A34: 68380B42
	v_add_u32_e32 v29, v67, v5                                 // 000000002A38: 683A0B43
	v_mul_u32_u24_dpp v64, v17, v63 quad_perm:[0,0,0,0] row_mask:0xf bank_mask:0xf// 000000002A3C: 10807EFA FF000011
	v_add_u32_e32 v3, v64, v59                                 // 000000002A44: 68067740
	v_mul_u32_u24_dpp v64, v17, v63 quad_perm:[0,0,0,0] row_mask:0xf bank_mask:0xf// 000000002A48: 10807EFA FF000011
	v_add_u32_e32 v56, v64, v60                                // 000000002A50: 68707940
	v_mfma_f32_16x16x32_fp8_fp8 v[112:115], a[0:1], v[80:81], 0// 000000002A54: D3F30070 0A02A100
	v_mfma_f32_16x16x32_fp8_fp8 v[112:115], a[2:3], v[82:83], v[112:115]// 000000002A5C: D3F30070 0DC2A502
	buffer_load_dwordx4 a[32:35], v26, s[16:19], 0 offen       // 000000002A64: E05C1000 8084201A
	v_mfma_f32_16x16x32_fp8_fp8 v[112:115], a[4:5], v[84:85], v[112:115]// 000000002A6C: D3F30070 0DC2A904
	v_mfma_f32_16x16x32_fp8_fp8 v[112:115], a[6:7], v[86:87], v[112:115]// 000000002A74: D3F30070 0DC2AD06
	buffer_load_dword v16, v1, s[24:27], 0 offen               // 000000002A7C: E0501000 80061001
	v_mfma_f32_16x16x32_fp8_fp8 v[116:119], a[8:9], v[80:81], 0// 000000002A84: D3F30074 0A02A108
	v_mfma_f32_16x16x32_fp8_fp8 v[116:119], a[10:11], v[82:83], v[116:119]// 000000002A8C: D3F30074 0DD2A50A
	buffer_load_dwordx4 a[36:39], v26, s[16:19], 0 offen offset:1024// 000000002A94: E05C1400 8084241A
	v_mfma_f32_16x16x32_fp8_fp8 v[116:119], a[12:13], v[84:85], v[116:119]// 000000002A9C: D3F30074 0DD2A90C
	v_mfma_f32_16x16x32_fp8_fp8 v[116:119], a[14:15], v[86:87], v[116:119]// 000000002AA4: D3F30074 0DD2AD0E
	v_mfma_f32_16x16x32_fp8_fp8 v[120:123], a[16:17], v[80:81], 0// 000000002AAC: D3F30078 0A02A110
	v_mfma_f32_16x16x32_fp8_fp8 v[120:123], a[18:19], v[82:83], v[120:123]// 000000002AB4: D3F30078 0DE2A512
	buffer_load_dwordx4 a[40:43], v27, s[16:19], 0 offen       // 000000002ABC: E05C1000 8084281B
	v_mfma_f32_16x16x32_fp8_fp8 v[120:123], a[20:21], v[84:85], v[120:123]// 000000002AC4: D3F30078 0DE2A914
	v_mfma_f32_16x16x32_fp8_fp8 v[120:123], a[22:23], v[86:87], v[120:123]// 000000002ACC: D3F30078 0DE2AD16
	v_mfma_f32_16x16x32_fp8_fp8 v[124:127], a[24:25], v[80:81], 0// 000000002AD4: D3F3007C 0A02A118
	v_mfma_f32_16x16x32_fp8_fp8 v[124:127], a[26:27], v[82:83], v[124:127]// 000000002ADC: D3F3007C 0DF2A51A
	buffer_load_dwordx4 a[44:47], v27, s[16:19], 0 offen offset:1024// 000000002AE4: E05C1400 80842C1B
	v_mfma_f32_16x16x32_fp8_fp8 v[124:127], a[28:29], v[84:85], v[124:127]// 000000002AEC: D3F3007C 0DF2A91C
	v_mfma_f32_16x16x32_fp8_fp8 v[124:127], a[30:31], v[86:87], v[124:127]// 000000002AF4: D3F3007C 0DF2AD1E
	buffer_load_dword v43, v3, s[32:35], 0 offen               // 000000002AFC: E0501000 80082B03
	v_mov_b32_dpp v64, v42 row_shr:4 row_mask:0xf bank_mask:0xf// 000000002B04: 7E8002FA FF01142A
	v_mov_b32_dpp v65, v42 row_shl:4 row_mask:0xf bank_mask:0xf// 000000002B0C: 7E8202FA FF01042A
	v_cndmask_b32_e64 v248, v42, v64, s[44:45]                 // 000000002B14: D10000F8 00B2812A
	v_cndmask_b32_e64 v249, v65, v42, s[44:45]                 // 000000002B1C: D10000F9 00B25541
	v_mov_b32_dpp v64, v248 row_shr:8 row_mask:0xf bank_mask:0xf// 000000002B24: 7E8002FA FF0118F8
	v_mov_b32_dpp v65, v248 row_shl:8 row_mask:0xf bank_mask:0xf// 000000002B2C: 7E8202FA FF0108F8
	v_mov_b32_dpp v66, v249 row_shr:8 row_mask:0xf bank_mask:0xf// 000000002B34: 7E8402FA FF0118F9
	v_mov_b32_dpp v67, v249 row_shl:8 row_mask:0xf bank_mask:0xf// 000000002B3C: 7E8602FA FF0108F9
	v_mov_b32_e32 v68, v248                                    // 000000002B44: 7E8803F8
	v_mov_b32_e32 v69, v249                                    // 000000002B48: 7E8A03F9
	v_cndmask_b32_e64 v248, v68, v64, s[42:43]                 // 000000002B4C: D10000F8 00AA8144
	v_cndmask_b32_e64 v250, v68, v65, s[78:79]                 // 000000002B54: D10000FA 013A8344
	v_cndmask_b32_e64 v249, v69, v66, s[42:43]                 // 000000002B5C: D10000F9 00AA8545
	v_cndmask_b32_e64 v251, v69, v67, s[78:79]                 // 000000002B64: D10000FB 013A8745
	v_mov_b32_dpp v64, v57 row_shr:4 row_mask:0xf bank_mask:0xf// 000000002B6C: 7E8002FA FF011439
	v_mov_b32_dpp v65, v57 row_shl:4 row_mask:0xf bank_mask:0xf// 000000002B74: 7E8202FA FF010439
	v_cndmask_b32_e64 v252, v57, v64, s[44:45]                 // 000000002B7C: D10000FC 00B28139
	v_cndmask_b32_e64 v253, v65, v57, s[44:45]                 // 000000002B84: D10000FD 00B27341
	v_mov_b32_dpp v64, v252 row_shr:8 row_mask:0xf bank_mask:0xf// 000000002B8C: 7E8002FA FF0118FC
	v_mov_b32_dpp v65, v252 row_shl:8 row_mask:0xf bank_mask:0xf// 000000002B94: 7E8202FA FF0108FC
	v_mov_b32_dpp v66, v253 row_shr:8 row_mask:0xf bank_mask:0xf// 000000002B9C: 7E8402FA FF0118FD
	v_mov_b32_dpp v67, v253 row_shl:8 row_mask:0xf bank_mask:0xf// 000000002BA4: 7E8602FA FF0108FD
	v_mov_b32_e32 v68, v252                                    // 000000002BAC: 7E8803FC
	v_mov_b32_e32 v69, v253                                    // 000000002BB0: 7E8A03FD
	v_cndmask_b32_e64 v252, v68, v64, s[42:43]                 // 000000002BB4: D10000FC 00AA8144
	v_cndmask_b32_e64 v254, v68, v65, s[78:79]                 // 000000002BBC: D10000FE 013A8344
	v_cndmask_b32_e64 v253, v69, v66, s[42:43]                 // 000000002BC4: D10000FD 00AA8545
	v_cndmask_b32_e64 v255, v69, v67, s[78:79]                 // 000000002BCC: D10000FF 013A8745
	buffer_load_dword v58, v56, s[36:39], 0 offen              // 000000002BD4: E0501000 80093A38
	v_mul_f32_e32 v112, v18, v112                              // 000000002BDC: 0AE0E112
	v_mul_f32_e32 v113, v18, v113                              // 000000002BE0: 0AE2E312
	v_mul_f32_e32 v114, v18, v114                              // 000000002BE4: 0AE4E512
	v_mul_f32_e32 v115, v18, v115                              // 000000002BE8: 0AE6E712
	v_mul_f32_e32 v116, v18, v116                              // 000000002BEC: 0AE8E912
	v_mul_f32_e32 v117, v18, v117                              // 000000002BF0: 0AEAEB12
	v_mul_f32_e32 v118, v18, v118                              // 000000002BF4: 0AECED12
	v_mul_f32_e32 v119, v18, v119                              // 000000002BF8: 0AEEEF12
	v_mul_f32_e32 v120, v18, v120                              // 000000002BFC: 0AF0F112
	v_mul_f32_e32 v121, v18, v121                              // 000000002C00: 0AF2F312
	v_mul_f32_e32 v122, v18, v122                              // 000000002C04: 0AF4F512
	v_mul_f32_e32 v123, v18, v123                              // 000000002C08: 0AF6F712
	v_mul_f32_e32 v124, v18, v124                              // 000000002C0C: 0AF8F912
	v_mul_f32_e32 v125, v18, v125                              // 000000002C10: 0AFAFB12
	v_mul_f32_e32 v126, v18, v126                              // 000000002C14: 0AFCFD12
	v_mul_f32_e32 v127, v18, v127                              // 000000002C18: 0AFEFF12
	buffer_load_dwordx4 a[48:51], v28, s[16:19], 0 offen       // 000000002C1C: E05C1000 8084301C
	v_mul_f32_dpp v112, v248, v112 quad_perm:[0,0,0,0] row_mask:0xf bank_mask:0xf// 000000002C24: 0AE0E0FA FF0000F8
	v_mul_f32_dpp v113, v248, v113 quad_perm:[1,1,1,1] row_mask:0xf bank_mask:0xf// 000000002C2C: 0AE2E2FA FF0055F8
	v_mul_f32_dpp v114, v248, v114 quad_perm:[2,2,2,2] row_mask:0xf bank_mask:0xf// 000000002C34: 0AE4E4FA FF00AAF8
	v_mul_f32_dpp v115, v248, v115 quad_perm:[3,3,3,3] row_mask:0xf bank_mask:0xf// 000000002C3C: 0AE6E6FA FF00FFF8
	v_mul_f32_dpp v116, v249, v116 quad_perm:[0,0,0,0] row_mask:0xf bank_mask:0xf// 000000002C44: 0AE8E8FA FF0000F9
	v_mul_f32_dpp v117, v249, v117 quad_perm:[1,1,1,1] row_mask:0xf bank_mask:0xf// 000000002C4C: 0AEAEAFA FF0055F9
	v_mul_f32_dpp v118, v249, v118 quad_perm:[2,2,2,2] row_mask:0xf bank_mask:0xf// 000000002C54: 0AECECFA FF00AAF9
	v_mul_f32_dpp v119, v249, v119 quad_perm:[3,3,3,3] row_mask:0xf bank_mask:0xf// 000000002C5C: 0AEEEEFA FF00FFF9
	v_mul_f32_dpp v120, v250, v120 quad_perm:[0,0,0,0] row_mask:0xf bank_mask:0xf// 000000002C64: 0AF0F0FA FF0000FA
	v_mul_f32_dpp v121, v250, v121 quad_perm:[1,1,1,1] row_mask:0xf bank_mask:0xf// 000000002C6C: 0AF2F2FA FF0055FA
	v_mul_f32_dpp v122, v250, v122 quad_perm:[2,2,2,2] row_mask:0xf bank_mask:0xf// 000000002C74: 0AF4F4FA FF00AAFA
	v_mul_f32_dpp v123, v250, v123 quad_perm:[3,3,3,3] row_mask:0xf bank_mask:0xf// 000000002C7C: 0AF6F6FA FF00FFFA
	v_mul_f32_dpp v124, v251, v124 quad_perm:[0,0,0,0] row_mask:0xf bank_mask:0xf// 000000002C84: 0AF8F8FA FF0000FB
	v_mul_f32_dpp v125, v251, v125 quad_perm:[1,1,1,1] row_mask:0xf bank_mask:0xf// 000000002C8C: 0AFAFAFA FF0055FB
	v_mul_f32_dpp v126, v251, v126 quad_perm:[2,2,2,2] row_mask:0xf bank_mask:0xf// 000000002C94: 0AFCFCFA FF00AAFB
	v_mul_f32_dpp v127, v251, v127 quad_perm:[3,3,3,3] row_mask:0xf bank_mask:0xf// 000000002C9C: 0AFEFEFA FF00FFFB
	buffer_load_dwordx4 a[52:55], v28, s[16:19], 0 offen offset:1024// 000000002CA4: E05C1400 8084341C
	v_mov_b32_e32 v48, v112                                    // 000000002CAC: 7E600370
	v_max3_f32 v48, v112, v113, v48                            // 000000002CB0: D1D30030 04C2E370
	v_max3_f32 v48, v114, v115, v48                            // 000000002CB8: D1D30030 04C2E772
	v_max3_f32 v48, v116, v117, v48                            // 000000002CC0: D1D30030 04C2EB74
	v_max3_f32 v48, v118, v119, v48                            // 000000002CC8: D1D30030 04C2EF76
	v_max3_f32 v48, v120, v121, v48                            // 000000002CD0: D1D30030 04C2F378
	v_max3_f32 v48, v122, v123, v48                            // 000000002CD8: D1D30030 04C2F77A
	v_max3_f32 v48, v124, v125, v48                            // 000000002CE0: D1D30030 04C2FB7C
	v_max3_f32 v48, v126, v127, v48                            // 000000002CE8: D1D30030 04C2FF7E
	ds_write_b32 v8, v48 offset:16896                          // 000000002CF0: D81A4200 00003008
	buffer_load_dwordx4 a[56:59], v29, s[16:19], 0 offen       // 000000002CF8: E05C1000 8084381D
	v_mul_u32_u24_dpp v64, v17, v54 row_newbcast:1 row_mask:0xf bank_mask:0xf// 000000002D00: 10806CFA FF015111
	v_mul_u32_u24_dpp v65, v17, v54 row_newbcast:5 row_mask:0xf bank_mask:0xf// 000000002D08: 10826CFA FF015511
	v_mul_u32_u24_dpp v66, v17, v54 row_newbcast:9 row_mask:0xf bank_mask:0xf// 000000002D10: 10846CFA FF015911
	v_mul_u32_u24_dpp v67, v17, v54 row_newbcast:13 row_mask:0xf bank_mask:0xf// 000000002D18: 10866CFA FF015D11
	v_add_u32_e32 v34, v64, v6                                 // 000000002D20: 68440D40
	v_add_u32_e32 v35, v65, v6                                 // 000000002D24: 68460D41
	v_add_u32_e32 v36, v66, v6                                 // 000000002D28: 68480D42
	v_add_u32_e32 v37, v67, v6                                 // 000000002D2C: 684A0D43
	v_mul_f32_e32 v208, v49, v208                              // 000000002D30: 0BA1A131
	v_mul_f32_e32 v209, v49, v209                              // 000000002D34: 0BA3A331
	v_mul_f32_e32 v210, v49, v210                              // 000000002D38: 0BA5A531
	v_mul_f32_e32 v211, v49, v211                              // 000000002D3C: 0BA7A731
	v_mul_f32_e32 v212, v49, v212                              // 000000002D40: 0BA9A931
	v_mul_f32_e32 v213, v49, v213                              // 000000002D44: 0BABAB31
	v_mul_f32_e32 v214, v49, v214                              // 000000002D48: 0BADAD31
	v_mul_f32_e32 v215, v49, v215                              // 000000002D4C: 0BAFAF31
	s_waitcnt lgkmcnt(0)                                       // 000000002D50: BF8CC07F
	s_barrier                                                  // 000000002D54: BF8A0000
	ds_read_b32 v64, v7 offset:16896                           // 000000002D58: D86C4200 40000007
	ds_read_b32 v65, v7 offset:16960                           // 000000002D60: D86C4240 41000007
	ds_read_b32 v66, v7 offset:17024                           // 000000002D68: D86C4280 42000007
	ds_read_b32 v67, v7 offset:17088                           // 000000002D70: D86C42C0 43000007
	ds_read_b32 v68, v7 offset:17152                           // 000000002D78: D86C4300 44000007
	ds_read_b32 v69, v7 offset:17216                           // 000000002D80: D86C4340 45000007
	ds_read_b32 v70, v7 offset:17280                           // 000000002D88: D86C4380 46000007
	ds_read_b32 v71, v7 offset:17344                           // 000000002D90: D86C43C0 47000007
	ds_read_b32 v72, v7 offset:17408                           // 000000002D98: D86C4400 48000007
	ds_read_b32 v73, v7 offset:17472                           // 000000002DA0: D86C4440 49000007
	ds_read_b32 v74, v7 offset:17536                           // 000000002DA8: D86C4480 4A000007
	ds_read_b32 v75, v7 offset:17600                           // 000000002DB0: D86C44C0 4B000007
	ds_read_b32 v76, v7 offset:17664                           // 000000002DB8: D86C4500 4C000007
	ds_read_b32 v77, v7 offset:17728                           // 000000002DC0: D86C4540 4D000007
	ds_read_b32 v78, v7 offset:17792                           // 000000002DC8: D86C4580 4E000007
	ds_read_b32 v79, v7 offset:17856                           // 000000002DD0: D86C45C0 4F000007
	buffer_load_dwordx4 a[60:63], v29, s[16:19], 0 offen offset:1024// 000000002DD8: E05C1400 80843C1D
	v_mul_f32_e32 v176, v44, v176                              // 000000002DE0: 0B61612C
	v_mul_f32_e32 v177, v44, v177                              // 000000002DE4: 0B63632C
	v_mul_f32_e32 v178, v44, v178                              // 000000002DE8: 0B65652C
	v_mul_f32_e32 v179, v44, v179                              // 000000002DEC: 0B67672C
	v_mul_f32_e32 v180, v44, v180                              // 000000002DF0: 0B69692C
	v_mul_f32_e32 v181, v44, v181                              // 000000002DF4: 0B6B6B2C
	v_mul_f32_e32 v182, v44, v182                              // 000000002DF8: 0B6D6D2C
	v_mul_f32_e32 v183, v44, v183                              // 000000002DFC: 0B6F6F2C
	s_waitcnt lgkmcnt(0)                                       // 000000002E00: BF8CC07F
	v_max3_f32 v48, v64, v65, v48                              // 000000002E04: D1D30030 04C28340
	v_max3_f32 v48, v66, v67, v48                              // 000000002E0C: D1D30030 04C28742
	v_max3_f32 v48, v68, v69, v48                              // 000000002E14: D1D30030 04C28B44
	v_max3_f32 v48, v70, v71, v48                              // 000000002E1C: D1D30030 04C28F46
	v_max3_f32 v48, v72, v73, v48                              // 000000002E24: D1D30030 04C29348
	v_max3_f32 v48, v74, v75, v48                              // 000000002E2C: D1D30030 04C2974A
	v_max3_f32 v48, v76, v77, v48                              // 000000002E34: D1D30030 04C29B4C
	v_max3_f32 v48, v78, v79, v48                              // 000000002E3C: D1D30030 04C29F4E
	buffer_load_dwordx4 a[96:99], v34, s[20:23], 0 offen       // 000000002E44: E05C1000 80856022
	v_mov_b32_e32 v64, 0xff800000                              // 000000002E4C: 7E8002FF FF800000
	v_cmp_eq_u32_e64 s[40:41], v64, v11                        // 000000002E54: D0CA0028 00021740
	s_nop 1                                                    // 000000002E5C: BF800001
	v_max_f32_e32 v15, v48, v11                                // 000000002E60: 161E1730
	v_mul_f32_e32 v53, s64, v15                                // 000000002E64: 0A6A1E40
	v_fma_f32 v112, v112, s64, -v53                            // 000000002E68: D1CB0070 84D48170
	v_fma_f32 v113, v113, s64, -v53                            // 000000002E70: D1CB0071 84D48171
	v_fma_f32 v114, v114, s64, -v53                            // 000000002E78: D1CB0072 84D48172
	v_fma_f32 v115, v115, s64, -v53                            // 000000002E80: D1CB0073 84D48173
	v_fma_f32 v116, v116, s64, -v53                            // 000000002E88: D1CB0074 84D48174
	v_fma_f32 v117, v117, s64, -v53                            // 000000002E90: D1CB0075 84D48175
	v_fma_f32 v118, v118, s64, -v53                            // 000000002E98: D1CB0076 84D48176
	v_fma_f32 v119, v119, s64, -v53                            // 000000002EA0: D1CB0077 84D48177
	v_fma_f32 v120, v120, s64, -v53                            // 000000002EA8: D1CB0078 84D48178
	v_fma_f32 v121, v121, s64, -v53                            // 000000002EB0: D1CB0079 84D48179
	v_fma_f32 v122, v122, s64, -v53                            // 000000002EB8: D1CB007A 84D4817A
	v_fma_f32 v123, v123, s64, -v53                            // 000000002EC0: D1CB007B 84D4817B
	v_fma_f32 v124, v124, s64, -v53                            // 000000002EC8: D1CB007C 84D4817C
	v_fma_f32 v125, v125, s64, -v53                            // 000000002ED0: D1CB007D 84D4817D
	v_fma_f32 v126, v126, s64, -v53                            // 000000002ED8: D1CB007E 84D4817E
	v_fma_f32 v127, v127, s64, -v53                            // 000000002EE0: D1CB007F 84D4817F
	buffer_load_dwordx4 a[100:103], v35, s[20:23], 0 offen     // 000000002EE8: E05C1000 80856423
	v_exp_f32_e32 v112, v112                                   // 000000002EF0: 7EE04170
	v_exp_f32_e32 v113, v113                                   // 000000002EF4: 7EE24171
	v_exp_f32_e32 v114, v114                                   // 000000002EF8: 7EE44172
	v_exp_f32_e32 v115, v115                                   // 000000002EFC: 7EE64173
	v_exp_f32_e32 v116, v116                                   // 000000002F00: 7EE84174
	v_exp_f32_e32 v117, v117                                   // 000000002F04: 7EEA4175
	v_exp_f32_e32 v118, v118                                   // 000000002F08: 7EEC4176
	v_exp_f32_e32 v119, v119                                   // 000000002F0C: 7EEE4177
	v_exp_f32_e32 v120, v120                                   // 000000002F10: 7EF04178
	v_exp_f32_e32 v121, v121                                   // 000000002F14: 7EF24179
	v_exp_f32_e32 v122, v122                                   // 000000002F18: 7EF4417A
	v_exp_f32_e32 v123, v123                                   // 000000002F1C: 7EF6417B
	v_exp_f32_e32 v124, v124                                   // 000000002F20: 7EF8417C
	v_exp_f32_e32 v125, v125                                   // 000000002F24: 7EFA417D
	v_exp_f32_e32 v126, v126                                   // 000000002F28: 7EFC417E
	v_exp_f32_e32 v127, v127                                   // 000000002F2C: 7EFE417F
	buffer_load_dwordx4 a[104:107], v36, s[20:23], 0 offen     // 000000002F30: E05C1000 80856824
	v_mul_f32_dpp v240, v252, v112 quad_perm:[0,0,0,0] row_mask:0xf bank_mask:0xf// 000000002F38: 0BE0E0FA FF0000FC
	v_mul_f32_dpp v241, v252, v113 quad_perm:[1,1,1,1] row_mask:0xf bank_mask:0xf// 000000002F40: 0BE2E2FA FF0055FC
	v_mul_f32_dpp v242, v252, v114 quad_perm:[2,2,2,2] row_mask:0xf bank_mask:0xf// 000000002F48: 0BE4E4FA FF00AAFC
	v_mul_f32_dpp v243, v252, v115 quad_perm:[3,3,3,3] row_mask:0xf bank_mask:0xf// 000000002F50: 0BE6E6FA FF00FFFC
	v_mul_f32_dpp v244, v253, v116 quad_perm:[0,0,0,0] row_mask:0xf bank_mask:0xf// 000000002F58: 0BE8E8FA FF0000FD
	v_mul_f32_dpp v245, v253, v117 quad_perm:[1,1,1,1] row_mask:0xf bank_mask:0xf// 000000002F60: 0BEAEAFA FF0055FD
	v_mul_f32_dpp v246, v253, v118 quad_perm:[2,2,2,2] row_mask:0xf bank_mask:0xf// 000000002F68: 0BECECFA FF00AAFD
	v_mul_f32_dpp v247, v253, v119 quad_perm:[3,3,3,3] row_mask:0xf bank_mask:0xf// 000000002F70: 0BEEEEFA FF00FFFD
	v_mul_f32_dpp v248, v254, v120 quad_perm:[0,0,0,0] row_mask:0xf bank_mask:0xf// 000000002F78: 0BF0F0FA FF0000FE
	v_mul_f32_dpp v249, v254, v121 quad_perm:[1,1,1,1] row_mask:0xf bank_mask:0xf// 000000002F80: 0BF2F2FA FF0055FE
	v_mul_f32_dpp v250, v254, v122 quad_perm:[2,2,2,2] row_mask:0xf bank_mask:0xf// 000000002F88: 0BF4F4FA FF00AAFE
	v_mul_f32_dpp v251, v254, v123 quad_perm:[3,3,3,3] row_mask:0xf bank_mask:0xf// 000000002F90: 0BF6F6FA FF00FFFE
	v_mul_f32_dpp v252, v255, v124 quad_perm:[0,0,0,0] row_mask:0xf bank_mask:0xf// 000000002F98: 0BF8F8FA FF0000FF
	v_mul_f32_dpp v253, v255, v125 quad_perm:[1,1,1,1] row_mask:0xf bank_mask:0xf// 000000002FA0: 0BFAFAFA FF0055FF
	v_mul_f32_dpp v254, v255, v126 quad_perm:[2,2,2,2] row_mask:0xf bank_mask:0xf// 000000002FA8: 0BFCFCFA FF00AAFF
	v_mul_f32_dpp v255, v255, v127 quad_perm:[3,3,3,3] row_mask:0xf bank_mask:0xf// 000000002FB0: 0BFEFEFA FF00FFFF
	v_mov_b32_e32 v48, 0x358637bd                              // 000000002FB8: 7E6002FF 358637BD
	v_max3_f32 v48, |v240|, |v241|, v48                        // 000000002FC0: D1D30330 04C3E3F0
	v_max3_f32 v48, |v242|, |v243|, v48                        // 000000002FC8: D1D30330 04C3E7F2
	v_max3_f32 v48, |v244|, |v245|, v48                        // 000000002FD0: D1D30330 04C3EBF4
	v_max3_f32 v48, |v246|, |v247|, v48                        // 000000002FD8: D1D30330 04C3EFF6
	v_max3_f32 v48, |v248|, |v249|, v48                        // 000000002FE0: D1D30330 04C3F3F8
	v_max3_f32 v48, |v250|, |v251|, v48                        // 000000002FE8: D1D30330 04C3F7FA
	v_max3_f32 v48, |v252|, |v253|, v48                        // 000000002FF0: D1D30330 04C3FBFC
	v_max3_f32 v48, |v254|, |v255|, v48                        // 000000002FF8: D1D30330 04C3FFFE
	buffer_load_dwordx4 a[108:111], v37, s[20:23], 0 offen     // 000000003000: E05C1000 80856C25
	ds_write_b32 v8, v48 offset:20992                          // 000000003008: D81A5200 00003008
	v_sub_f32_e32 v49, v11, v15                                // 000000003010: 04621F0B
	v_cndmask_b32_e64 v49, v49, 0, s[40:41]                    // 000000003014: D1000031 00A10131
	v_mov_b32_e32 v11, v15                                     // 00000000301C: 7E16030F
	v_mul_f32_e32 v49, s64, v49                                // 000000003020: 0A626240
	v_exp_f32_e32 v49, v49                                     // 000000003024: 7E624131
	s_waitcnt lgkmcnt(0)                                       // 000000003028: BF8CC07F
	s_barrier                                                  // 00000000302C: BF8A0000
	ds_read_b32 v64, v7 offset:20992                           // 000000003030: D86C5200 40000007
	ds_read_b32 v65, v7 offset:21056                           // 000000003038: D86C5240 41000007
	ds_read_b32 v66, v7 offset:21120                           // 000000003040: D86C5280 42000007
	ds_read_b32 v67, v7 offset:21184                           // 000000003048: D86C52C0 43000007
	ds_read_b32 v68, v7 offset:21248                           // 000000003050: D86C5300 44000007
	ds_read_b32 v69, v7 offset:21312                           // 000000003058: D86C5340 45000007
	ds_read_b32 v70, v7 offset:21376                           // 000000003060: D86C5380 46000007
	ds_read_b32 v71, v7 offset:21440                           // 000000003068: D86C53C0 47000007
	ds_read_b32 v72, v7 offset:21504                           // 000000003070: D86C5400 48000007
	ds_read_b32 v73, v7 offset:21568                           // 000000003078: D86C5440 49000007
	ds_read_b32 v74, v7 offset:21632                           // 000000003080: D86C5480 4A000007
	ds_read_b32 v75, v7 offset:21696                           // 000000003088: D86C54C0 4B000007
	ds_read_b32 v76, v7 offset:21760                           // 000000003090: D86C5500 4C000007
	ds_read_b32 v77, v7 offset:21824                           // 000000003098: D86C5540 4D000007
	ds_read_b32 v78, v7 offset:21888                           // 0000000030A0: D86C5580 4E000007
	ds_read_b32 v79, v7 offset:21952                           // 0000000030A8: D86C55C0 4F000007
	v_mul_f32_e32 v38, v49, v38                                // 0000000030B0: 0A4C4D31
	v_mov_b32_e32 v15, v112                                    // 0000000030B4: 7E1E0370
	v_add_f32_e32 v15, v113, v15                               // 0000000030B8: 021E1F71
	v_add_f32_e32 v15, v114, v15                               // 0000000030BC: 021E1F72
	v_add_f32_e32 v15, v115, v15                               // 0000000030C0: 021E1F73
	v_add_f32_e32 v15, v116, v15                               // 0000000030C4: 021E1F74
	v_add_f32_e32 v15, v117, v15                               // 0000000030C8: 021E1F75
	v_add_f32_e32 v15, v118, v15                               // 0000000030CC: 021E1F76
	v_add_f32_e32 v15, v119, v15                               // 0000000030D0: 021E1F77
	v_add_f32_e32 v15, v120, v15                               // 0000000030D4: 021E1F78
	v_add_f32_e32 v15, v121, v15                               // 0000000030D8: 021E1F79
	v_add_f32_e32 v15, v122, v15                               // 0000000030DC: 021E1F7A
	v_add_f32_e32 v15, v123, v15                               // 0000000030E0: 021E1F7B
	v_add_f32_e32 v15, v124, v15                               // 0000000030E4: 021E1F7C
	v_add_f32_e32 v15, v125, v15                               // 0000000030E8: 021E1F7D
	v_add_f32_e32 v15, v126, v15                               // 0000000030EC: 021E1F7E
	v_add_f32_e32 v15, v127, v15                               // 0000000030F0: 021E1F7F
	v_add_f32_e32 v38, v15, v38                                // 0000000030F4: 024C4D0F
	s_waitcnt lgkmcnt(0)                                       // 0000000030F8: BF8CC07F
	v_max3_f32 v48, |v64|, |v65|, v48                          // 0000000030FC: D1D30330 04C28340
	v_max3_f32 v48, |v66|, |v67|, v48                          // 000000003104: D1D30330 04C28742
	v_max3_f32 v48, |v68|, |v69|, v48                          // 00000000310C: D1D30330 04C28B44
	v_max3_f32 v48, |v70|, |v71|, v48                          // 000000003114: D1D30330 04C28F46
	v_max3_f32 v48, |v72|, |v73|, v48                          // 00000000311C: D1D30330 04C29348
	v_max3_f32 v48, |v74|, |v75|, v48                          // 000000003124: D1D30330 04C2974A
	v_max3_f32 v48, |v76|, |v77|, v48                          // 00000000312C: D1D30330 04C29B4C
	v_max3_f32 v48, |v78|, |v79|, v48                          // 000000003134: D1D30330 04C29F4E
	s_nop 2                                                    // 00000000313C: BF800002
	v_rcp_f32_e32 v48, v48                                     // 000000003140: 7E604530
	s_nop 1                                                    // 000000003144: BF800001
	v_mul_f32_e32 v48, 0x43e00000, v48                         // 000000003148: 0A6060FF 43E00000
	v_mul_f32_e32 v112, v48, v240                              // 000000003150: 0AE1E130
	v_mul_f32_e32 v113, v48, v241                              // 000000003154: 0AE3E330
	v_mul_f32_e32 v114, v48, v242                              // 000000003158: 0AE5E530
	v_mul_f32_e32 v115, v48, v243                              // 00000000315C: 0AE7E730
	v_mul_f32_e32 v116, v48, v244                              // 000000003160: 0AE9E930
	v_mul_f32_e32 v117, v48, v245                              // 000000003164: 0AEBEB30
	v_mul_f32_e32 v118, v48, v246                              // 000000003168: 0AEDED30
	v_mul_f32_e32 v119, v48, v247                              // 00000000316C: 0AEFEF30
	v_mul_f32_e32 v120, v48, v248                              // 000000003170: 0AF1F130
	v_mul_f32_e32 v121, v48, v249                              // 000000003174: 0AF3F330
	v_mul_f32_e32 v122, v48, v250                              // 000000003178: 0AF5F530
	v_mul_f32_e32 v123, v48, v251                              // 00000000317C: 0AF7F730
	v_mul_f32_e32 v124, v48, v252                              // 000000003180: 0AF9F930
	v_mul_f32_e32 v125, v48, v253                              // 000000003184: 0AFBFB30
	v_mul_f32_e32 v126, v48, v254                              // 000000003188: 0AFDFD30
	v_mul_f32_e32 v127, v48, v255                              // 00000000318C: 0AFFFF30
	v_cvt_pk_fp8_f32 v112, v112, v113                          // 000000003190: D2A20070 0002E370
	v_cvt_pk_fp8_f32 v112, v114, v115 op_sel:[0,0,1]           // 000000003198: D2A24070 0002E772
	v_cvt_pk_fp8_f32 v113, v116, v117                          // 0000000031A0: D2A20071 0002EB74
	v_cvt_pk_fp8_f32 v113, v118, v119 op_sel:[0,0,1]           // 0000000031A8: D2A24071 0002EF76
	v_cvt_pk_fp8_f32 v114, v120, v121                          // 0000000031B0: D2A20072 0002F378
	v_cvt_pk_fp8_f32 v114, v122, v123 op_sel:[0,0,1]           // 0000000031B8: D2A24072 0002F77A
	v_cvt_pk_fp8_f32 v115, v124, v125                          // 0000000031C0: D2A20073 0002FB7C
	v_cvt_pk_fp8_f32 v115, v126, v127 op_sel:[0,0,1]           // 0000000031C8: D2A24073 0002FF7E
	ds_write_b32 v10, v112 offset:25088                        // 0000000031D0: D81A6200 0000700A
	ds_write_b32 v10, v113 offset:26112                        // 0000000031D8: D81A6600 0000710A
	ds_write_b32 v10, v114 offset:27136                        // 0000000031E0: D81A6A00 0000720A
	ds_write_b32 v10, v115 offset:28160                        // 0000000031E8: D81A6E00 0000730A
	v_add_f32_e32 v208, v208, v176                             // 0000000031F0: 03A161D0
	v_add_f32_e32 v209, v209, v177                             // 0000000031F4: 03A363D1
	v_add_f32_e32 v210, v210, v178                             // 0000000031F8: 03A565D2
	v_add_f32_e32 v211, v211, v179                             // 0000000031FC: 03A767D3
	v_add_f32_e32 v212, v212, v180                             // 000000003200: 03A969D4
	v_add_f32_e32 v213, v213, v181                             // 000000003204: 03AB6BD5
	v_add_f32_e32 v214, v214, v182                             // 000000003208: 03AD6DD6
	v_add_f32_e32 v215, v215, v183                             // 00000000320C: 03AF6FD7
	v_rcp_f32_e32 v44, v48                                     // 000000003210: 7E584530
	s_waitcnt lgkmcnt(0)                                       // 000000003214: BF8CC07F
	s_barrier                                                  // 000000003218: BF8A0000
	ds_read_b64 v[112:113], v9 offset:25088                    // 00000000321C: D8EC6200 70000009
	ds_read_b64 v[114:115], v9 offset:25216                    // 000000003224: D8EC6280 72000009
	ds_read_b64 v[116:117], v9 offset:26112                    // 00000000322C: D8EC6600 74000009
	ds_read_b64 v[118:119], v9 offset:26240                    // 000000003234: D8EC6680 76000009
	ds_read_b64 v[120:121], v9 offset:27136                    // 00000000323C: D8EC6A00 78000009
	ds_read_b64 v[122:123], v9 offset:27264                    // 000000003244: D8EC6A80 7A000009
	ds_read_b64 v[124:125], v9 offset:28160                    // 00000000324C: D8EC6E00 7C000009
	ds_read_b64 v[126:127], v9 offset:28288                    // 000000003254: D8EC6E80 7E000009
	s_waitcnt vmcnt(15)                                        // 00000000325C: BF8C0F7F
	s_waitcnt lgkmcnt(7)                                       // 000000003260: BF8CC77F
	v_mfma_f32_16x16x32_fp8_fp8 v[176:179], a[64:65], v[112:113], 0// 000000003264: D3F300B0 0A02E140
	s_waitcnt lgkmcnt(6)                                       // 00000000326C: BF8CC67F
	v_mfma_f32_16x16x32_fp8_fp8 v[176:179], a[66:67], v[114:115], v[176:179]// 000000003270: D3F300B0 0EC2E542
	buffer_load_dwordx4 a[112:115], v34, s[20:23], 0 offen offset:1024// 000000003278: E05C1400 80857022
	s_waitcnt lgkmcnt(5)                                       // 000000003280: BF8CC57F
	v_mfma_f32_16x16x32_fp8_fp8 v[176:179], a[68:69], v[116:117], v[176:179]// 000000003284: D3F300B0 0EC2E944
	s_waitcnt lgkmcnt(4)                                       // 00000000328C: BF8CC47F
	v_mfma_f32_16x16x32_fp8_fp8 v[176:179], a[70:71], v[118:119], v[176:179]// 000000003290: D3F300B0 0EC2ED46
	s_waitcnt lgkmcnt(3)                                       // 000000003298: BF8CC37F
	v_mfma_f32_16x16x32_fp8_fp8 v[176:179], a[72:73], v[120:121], v[176:179]// 00000000329C: D3F300B0 0EC2F148
	s_waitcnt lgkmcnt(2)                                       // 0000000032A4: BF8CC27F
	v_mfma_f32_16x16x32_fp8_fp8 v[176:179], a[74:75], v[122:123], v[176:179]// 0000000032A8: D3F300B0 0EC2F54A
	buffer_load_dwordx4 a[116:119], v35, s[20:23], 0 offen offset:1024// 0000000032B0: E05C1400 80857423
	s_waitcnt lgkmcnt(1)                                       // 0000000032B8: BF8CC17F
	v_mfma_f32_16x16x32_fp8_fp8 v[176:179], a[76:77], v[124:125], v[176:179]// 0000000032BC: D3F300B0 0EC2F94C
	s_waitcnt lgkmcnt(0)                                       // 0000000032C4: BF8CC07F
	v_mfma_f32_16x16x32_fp8_fp8 v[176:179], a[78:79], v[126:127], v[176:179]// 0000000032C8: D3F300B0 0EC2FD4E
	v_mfma_f32_16x16x32_fp8_fp8 v[180:183], a[80:81], v[112:113], 0// 0000000032D0: D3F300B4 0A02E150
	v_mfma_f32_16x16x32_fp8_fp8 v[180:183], a[82:83], v[114:115], v[180:183]// 0000000032D8: D3F300B4 0ED2E552
	buffer_load_dwordx4 a[120:123], v36, s[20:23], 0 offen offset:1024// 0000000032E0: E05C1400 80857824
	v_mfma_f32_16x16x32_fp8_fp8 v[180:183], a[84:85], v[116:117], v[180:183]// 0000000032E8: D3F300B4 0ED2E954
	v_mfma_f32_16x16x32_fp8_fp8 v[180:183], a[86:87], v[118:119], v[180:183]// 0000000032F0: D3F300B4 0ED2ED56
	v_mfma_f32_16x16x32_fp8_fp8 v[180:183], a[88:89], v[120:121], v[180:183]// 0000000032F8: D3F300B4 0ED2F158
	v_mfma_f32_16x16x32_fp8_fp8 v[180:183], a[90:91], v[122:123], v[180:183]// 000000003300: D3F300B4 0ED2F55A
	buffer_load_dwordx4 a[124:127], v37, s[20:23], 0 offen offset:1024// 000000003308: E05C1400 80857C25
	v_mfma_f32_16x16x32_fp8_fp8 v[180:183], a[92:93], v[124:125], v[180:183]// 000000003310: D3F300B4 0ED2F95C
	s_lshr_b32 s57, s70, 4                                     // 000000003318: 8F398446
	s_add_u32 s57, 48, s57                                     // 00000000331C: 803939B0
	v_mfma_f32_16x16x32_fp8_fp8 v[180:183], a[94:95], v[126:127], v[180:183]// 000000003320: D3F300B4 0ED2FD5E
	s_cmp_ge_u32 s57, s73                                      // 000000003328: BF094939
	s_cselect_b32 s56, 0, s56                                  // 00000000332C: 85383880
	v_add_u32_e32 v1, s56, v1                                  // 000000003330: 68020238
	s_addk_i32 s70, 0x100                                      // 000000003334: B7460100
	s_cmp_lt_i32 s70, s71                                      // 000000003338: BF044746
	s_cbranch_scc0 label_069F                                  // 00000000333C: BF84024F
	s_waitcnt vmcnt(8) lgkmcnt(0)                              // 000000003340: BF8C0078
	v_mul_u32_u24_dpp v64, v16, v54 row_newbcast:0 row_mask:0xf bank_mask:0xf// 000000003344: 10806CFA FF015010
	v_mul_u32_u24_dpp v65, v16, v54 row_newbcast:4 row_mask:0xf bank_mask:0xf// 00000000334C: 10826CFA FF015410
	v_mul_u32_u24_dpp v66, v16, v54 row_newbcast:8 row_mask:0xf bank_mask:0xf// 000000003354: 10846CFA FF015810
	v_mul_u32_u24_dpp v67, v16, v54 row_newbcast:12 row_mask:0xf bank_mask:0xf// 00000000335C: 10866CFA FF015C10
	v_add_u32_e32 v22, v64, v5                                 // 000000003364: 682C0B40
	v_add_u32_e32 v23, v65, v5                                 // 000000003368: 682E0B41
	v_add_u32_e32 v24, v66, v5                                 // 00000000336C: 68300B42
	v_add_u32_e32 v25, v67, v5                                 // 000000003370: 68320B43
	v_mul_u32_u24_dpp v64, v16, v63 quad_perm:[0,0,0,0] row_mask:0xf bank_mask:0xf// 000000003374: 10807EFA FF000010
	v_add_u32_e32 v2, v64, v59                                 // 00000000337C: 68047740
	v_mul_u32_u24_dpp v64, v16, v63 quad_perm:[0,0,0,0] row_mask:0xf bank_mask:0xf// 000000003380: 10807EFA FF000010
	v_add_u32_e32 v55, v64, v60                                // 000000003388: 686E7940
	v_mfma_f32_16x16x32_fp8_fp8 v[112:115], a[32:33], v[80:81], 0// 00000000338C: D3F30070 0A02A120
	v_mfma_f32_16x16x32_fp8_fp8 v[112:115], a[34:35], v[82:83], v[112:115]// 000000003394: D3F30070 0DC2A522
	buffer_load_dwordx4 a[0:3], v22, s[16:19], 0 offen         // 00000000339C: E05C1000 80840016
	v_mfma_f32_16x16x32_fp8_fp8 v[112:115], a[36:37], v[84:85], v[112:115]// 0000000033A4: D3F30070 0DC2A924
	v_mfma_f32_16x16x32_fp8_fp8 v[112:115], a[38:39], v[86:87], v[112:115]// 0000000033AC: D3F30070 0DC2AD26
	buffer_load_dword v17, v1, s[24:27], 0 offen               // 0000000033B4: E0501000 80061101
	v_mfma_f32_16x16x32_fp8_fp8 v[116:119], a[40:41], v[80:81], 0// 0000000033BC: D3F30074 0A02A128
	v_mfma_f32_16x16x32_fp8_fp8 v[116:119], a[42:43], v[82:83], v[116:119]// 0000000033C4: D3F30074 0DD2A52A
	buffer_load_dwordx4 a[4:7], v22, s[16:19], 0 offen offset:1024// 0000000033CC: E05C1400 80840416
	v_mfma_f32_16x16x32_fp8_fp8 v[116:119], a[44:45], v[84:85], v[116:119]// 0000000033D4: D3F30074 0DD2A92C
	v_mfma_f32_16x16x32_fp8_fp8 v[116:119], a[46:47], v[86:87], v[116:119]// 0000000033DC: D3F30074 0DD2AD2E
	v_mfma_f32_16x16x32_fp8_fp8 v[120:123], a[48:49], v[80:81], 0// 0000000033E4: D3F30078 0A02A130
	v_mfma_f32_16x16x32_fp8_fp8 v[120:123], a[50:51], v[82:83], v[120:123]// 0000000033EC: D3F30078 0DE2A532
	buffer_load_dwordx4 a[8:11], v23, s[16:19], 0 offen        // 0000000033F4: E05C1000 80840817
	v_mfma_f32_16x16x32_fp8_fp8 v[120:123], a[52:53], v[84:85], v[120:123]// 0000000033FC: D3F30078 0DE2A934
	v_mfma_f32_16x16x32_fp8_fp8 v[120:123], a[54:55], v[86:87], v[120:123]// 000000003404: D3F30078 0DE2AD36
	v_mfma_f32_16x16x32_fp8_fp8 v[124:127], a[56:57], v[80:81], 0// 00000000340C: D3F3007C 0A02A138
	v_mfma_f32_16x16x32_fp8_fp8 v[124:127], a[58:59], v[82:83], v[124:127]// 000000003414: D3F3007C 0DF2A53A
	buffer_load_dwordx4 a[12:15], v23, s[16:19], 0 offen offset:1024// 00000000341C: E05C1400 80840C17
	v_mfma_f32_16x16x32_fp8_fp8 v[124:127], a[60:61], v[84:85], v[124:127]// 000000003424: D3F3007C 0DF2A93C
	v_mfma_f32_16x16x32_fp8_fp8 v[124:127], a[62:63], v[86:87], v[124:127]// 00000000342C: D3F3007C 0DF2AD3E
	buffer_load_dword v42, v2, s[32:35], 0 offen               // 000000003434: E0501000 80082A02
	v_mov_b32_dpp v64, v43 row_shr:4 row_mask:0xf bank_mask:0xf// 00000000343C: 7E8002FA FF01142B
	v_mov_b32_dpp v65, v43 row_shl:4 row_mask:0xf bank_mask:0xf// 000000003444: 7E8202FA FF01042B
	v_cndmask_b32_e64 v248, v43, v64, s[44:45]                 // 00000000344C: D10000F8 00B2812B
	v_cndmask_b32_e64 v249, v65, v43, s[44:45]                 // 000000003454: D10000F9 00B25741
	v_mov_b32_dpp v64, v248 row_shr:8 row_mask:0xf bank_mask:0xf// 00000000345C: 7E8002FA FF0118F8
	v_mov_b32_dpp v65, v248 row_shl:8 row_mask:0xf bank_mask:0xf// 000000003464: 7E8202FA FF0108F8
	v_mov_b32_dpp v66, v249 row_shr:8 row_mask:0xf bank_mask:0xf// 00000000346C: 7E8402FA FF0118F9
	v_mov_b32_dpp v67, v249 row_shl:8 row_mask:0xf bank_mask:0xf// 000000003474: 7E8602FA FF0108F9
	v_mov_b32_e32 v68, v248                                    // 00000000347C: 7E8803F8
	v_mov_b32_e32 v69, v249                                    // 000000003480: 7E8A03F9
	v_cndmask_b32_e64 v248, v68, v64, s[42:43]                 // 000000003484: D10000F8 00AA8144
	v_cndmask_b32_e64 v250, v68, v65, s[78:79]                 // 00000000348C: D10000FA 013A8344
	v_cndmask_b32_e64 v249, v69, v66, s[42:43]                 // 000000003494: D10000F9 00AA8545
	v_cndmask_b32_e64 v251, v69, v67, s[78:79]                 // 00000000349C: D10000FB 013A8745
	v_mov_b32_dpp v64, v58 row_shr:4 row_mask:0xf bank_mask:0xf// 0000000034A4: 7E8002FA FF01143A
	v_mov_b32_dpp v65, v58 row_shl:4 row_mask:0xf bank_mask:0xf// 0000000034AC: 7E8202FA FF01043A
	v_cndmask_b32_e64 v252, v58, v64, s[44:45]                 // 0000000034B4: D10000FC 00B2813A
	v_cndmask_b32_e64 v253, v65, v58, s[44:45]                 // 0000000034BC: D10000FD 00B27541
	v_mov_b32_dpp v64, v252 row_shr:8 row_mask:0xf bank_mask:0xf// 0000000034C4: 7E8002FA FF0118FC
	v_mov_b32_dpp v65, v252 row_shl:8 row_mask:0xf bank_mask:0xf// 0000000034CC: 7E8202FA FF0108FC
	v_mov_b32_dpp v66, v253 row_shr:8 row_mask:0xf bank_mask:0xf// 0000000034D4: 7E8402FA FF0118FD
	v_mov_b32_dpp v67, v253 row_shl:8 row_mask:0xf bank_mask:0xf// 0000000034DC: 7E8602FA FF0108FD
	v_mov_b32_e32 v68, v252                                    // 0000000034E4: 7E8803FC
	v_mov_b32_e32 v69, v253                                    // 0000000034E8: 7E8A03FD
	v_cndmask_b32_e64 v252, v68, v64, s[42:43]                 // 0000000034EC: D10000FC 00AA8144
	v_cndmask_b32_e64 v254, v68, v65, s[78:79]                 // 0000000034F4: D10000FE 013A8344
	v_cndmask_b32_e64 v253, v69, v66, s[42:43]                 // 0000000034FC: D10000FD 00AA8545
	v_cndmask_b32_e64 v255, v69, v67, s[78:79]                 // 000000003504: D10000FF 013A8745
	buffer_load_dword v57, v55, s[36:39], 0 offen              // 00000000350C: E0501000 80093937
	v_mul_f32_e32 v112, v18, v112                              // 000000003514: 0AE0E112
	v_mul_f32_e32 v113, v18, v113                              // 000000003518: 0AE2E312
	v_mul_f32_e32 v114, v18, v114                              // 00000000351C: 0AE4E512
	v_mul_f32_e32 v115, v18, v115                              // 000000003520: 0AE6E712
	v_mul_f32_e32 v116, v18, v116                              // 000000003524: 0AE8E912
	v_mul_f32_e32 v117, v18, v117                              // 000000003528: 0AEAEB12
	v_mul_f32_e32 v118, v18, v118                              // 00000000352C: 0AECED12
	v_mul_f32_e32 v119, v18, v119                              // 000000003530: 0AEEEF12
	v_mul_f32_e32 v120, v18, v120                              // 000000003534: 0AF0F112
	v_mul_f32_e32 v121, v18, v121                              // 000000003538: 0AF2F312
	v_mul_f32_e32 v122, v18, v122                              // 00000000353C: 0AF4F512
	v_mul_f32_e32 v123, v18, v123                              // 000000003540: 0AF6F712
	v_mul_f32_e32 v124, v18, v124                              // 000000003544: 0AF8F912
	v_mul_f32_e32 v125, v18, v125                              // 000000003548: 0AFAFB12
	v_mul_f32_e32 v126, v18, v126                              // 00000000354C: 0AFCFD12
	v_mul_f32_e32 v127, v18, v127                              // 000000003550: 0AFEFF12
	buffer_load_dwordx4 a[16:19], v24, s[16:19], 0 offen       // 000000003554: E05C1000 80841018
	v_mul_f32_dpp v112, v248, v112 quad_perm:[0,0,0,0] row_mask:0xf bank_mask:0xf// 00000000355C: 0AE0E0FA FF0000F8
	v_mul_f32_dpp v113, v248, v113 quad_perm:[1,1,1,1] row_mask:0xf bank_mask:0xf// 000000003564: 0AE2E2FA FF0055F8
	v_mul_f32_dpp v114, v248, v114 quad_perm:[2,2,2,2] row_mask:0xf bank_mask:0xf// 00000000356C: 0AE4E4FA FF00AAF8
	v_mul_f32_dpp v115, v248, v115 quad_perm:[3,3,3,3] row_mask:0xf bank_mask:0xf// 000000003574: 0AE6E6FA FF00FFF8
	v_mul_f32_dpp v116, v249, v116 quad_perm:[0,0,0,0] row_mask:0xf bank_mask:0xf// 00000000357C: 0AE8E8FA FF0000F9
	v_mul_f32_dpp v117, v249, v117 quad_perm:[1,1,1,1] row_mask:0xf bank_mask:0xf// 000000003584: 0AEAEAFA FF0055F9
	v_mul_f32_dpp v118, v249, v118 quad_perm:[2,2,2,2] row_mask:0xf bank_mask:0xf// 00000000358C: 0AECECFA FF00AAF9
	v_mul_f32_dpp v119, v249, v119 quad_perm:[3,3,3,3] row_mask:0xf bank_mask:0xf// 000000003594: 0AEEEEFA FF00FFF9
	v_mul_f32_dpp v120, v250, v120 quad_perm:[0,0,0,0] row_mask:0xf bank_mask:0xf// 00000000359C: 0AF0F0FA FF0000FA
	v_mul_f32_dpp v121, v250, v121 quad_perm:[1,1,1,1] row_mask:0xf bank_mask:0xf// 0000000035A4: 0AF2F2FA FF0055FA
	v_mul_f32_dpp v122, v250, v122 quad_perm:[2,2,2,2] row_mask:0xf bank_mask:0xf// 0000000035AC: 0AF4F4FA FF00AAFA
	v_mul_f32_dpp v123, v250, v123 quad_perm:[3,3,3,3] row_mask:0xf bank_mask:0xf// 0000000035B4: 0AF6F6FA FF00FFFA
	v_mul_f32_dpp v124, v251, v124 quad_perm:[0,0,0,0] row_mask:0xf bank_mask:0xf// 0000000035BC: 0AF8F8FA FF0000FB
	v_mul_f32_dpp v125, v251, v125 quad_perm:[1,1,1,1] row_mask:0xf bank_mask:0xf// 0000000035C4: 0AFAFAFA FF0055FB
	v_mul_f32_dpp v126, v251, v126 quad_perm:[2,2,2,2] row_mask:0xf bank_mask:0xf// 0000000035CC: 0AFCFCFA FF00AAFB
	v_mul_f32_dpp v127, v251, v127 quad_perm:[3,3,3,3] row_mask:0xf bank_mask:0xf// 0000000035D4: 0AFEFEFA FF00FFFB
	buffer_load_dwordx4 a[20:23], v24, s[16:19], 0 offen offset:1024// 0000000035DC: E05C1400 80841418
	v_mov_b32_e32 v48, v112                                    // 0000000035E4: 7E600370
	v_max3_f32 v48, v112, v113, v48                            // 0000000035E8: D1D30030 04C2E370
	v_max3_f32 v48, v114, v115, v48                            // 0000000035F0: D1D30030 04C2E772
	v_max3_f32 v48, v116, v117, v48                            // 0000000035F8: D1D30030 04C2EB74
	v_max3_f32 v48, v118, v119, v48                            // 000000003600: D1D30030 04C2EF76
	v_max3_f32 v48, v120, v121, v48                            // 000000003608: D1D30030 04C2F378
	v_max3_f32 v48, v122, v123, v48                            // 000000003610: D1D30030 04C2F77A
	v_max3_f32 v48, v124, v125, v48                            // 000000003618: D1D30030 04C2FB7C
	v_max3_f32 v48, v126, v127, v48                            // 000000003620: D1D30030 04C2FF7E
	ds_write_b32 v8, v48 offset:16896                          // 000000003628: D81A4200 00003008
	buffer_load_dwordx4 a[24:27], v25, s[16:19], 0 offen       // 000000003630: E05C1000 80841819
	v_mul_u32_u24_dpp v64, v16, v54 row_newbcast:1 row_mask:0xf bank_mask:0xf// 000000003638: 10806CFA FF015110
	v_mul_u32_u24_dpp v65, v16, v54 row_newbcast:5 row_mask:0xf bank_mask:0xf// 000000003640: 10826CFA FF015510
	v_mul_u32_u24_dpp v66, v16, v54 row_newbcast:9 row_mask:0xf bank_mask:0xf// 000000003648: 10846CFA FF015910
	v_mul_u32_u24_dpp v67, v16, v54 row_newbcast:13 row_mask:0xf bank_mask:0xf// 000000003650: 10866CFA FF015D10
	v_add_u32_e32 v30, v64, v6                                 // 000000003658: 683C0D40
	v_add_u32_e32 v31, v65, v6                                 // 00000000365C: 683E0D41
	v_add_u32_e32 v32, v66, v6                                 // 000000003660: 68400D42
	v_add_u32_e32 v33, v67, v6                                 // 000000003664: 68420D43
	v_mul_f32_e32 v208, v49, v208                              // 000000003668: 0BA1A131
	v_mul_f32_e32 v209, v49, v209                              // 00000000366C: 0BA3A331
	v_mul_f32_e32 v210, v49, v210                              // 000000003670: 0BA5A531
	v_mul_f32_e32 v211, v49, v211                              // 000000003674: 0BA7A731
	v_mul_f32_e32 v212, v49, v212                              // 000000003678: 0BA9A931
	v_mul_f32_e32 v213, v49, v213                              // 00000000367C: 0BABAB31
	v_mul_f32_e32 v214, v49, v214                              // 000000003680: 0BADAD31
	v_mul_f32_e32 v215, v49, v215                              // 000000003684: 0BAFAF31
	s_waitcnt lgkmcnt(0)                                       // 000000003688: BF8CC07F
	s_barrier                                                  // 00000000368C: BF8A0000
	ds_read_b32 v64, v7 offset:16896                           // 000000003690: D86C4200 40000007
	ds_read_b32 v65, v7 offset:16960                           // 000000003698: D86C4240 41000007
	ds_read_b32 v66, v7 offset:17024                           // 0000000036A0: D86C4280 42000007
	ds_read_b32 v67, v7 offset:17088                           // 0000000036A8: D86C42C0 43000007
	ds_read_b32 v68, v7 offset:17152                           // 0000000036B0: D86C4300 44000007
	ds_read_b32 v69, v7 offset:17216                           // 0000000036B8: D86C4340 45000007
	ds_read_b32 v70, v7 offset:17280                           // 0000000036C0: D86C4380 46000007
	ds_read_b32 v71, v7 offset:17344                           // 0000000036C8: D86C43C0 47000007
	ds_read_b32 v72, v7 offset:17408                           // 0000000036D0: D86C4400 48000007
	ds_read_b32 v73, v7 offset:17472                           // 0000000036D8: D86C4440 49000007
	ds_read_b32 v74, v7 offset:17536                           // 0000000036E0: D86C4480 4A000007
	ds_read_b32 v75, v7 offset:17600                           // 0000000036E8: D86C44C0 4B000007
	ds_read_b32 v76, v7 offset:17664                           // 0000000036F0: D86C4500 4C000007
	ds_read_b32 v77, v7 offset:17728                           // 0000000036F8: D86C4540 4D000007
	ds_read_b32 v78, v7 offset:17792                           // 000000003700: D86C4580 4E000007
	ds_read_b32 v79, v7 offset:17856                           // 000000003708: D86C45C0 4F000007
	buffer_load_dwordx4 a[28:31], v25, s[16:19], 0 offen offset:1024// 000000003710: E05C1400 80841C19
	v_mul_f32_e32 v176, v44, v176                              // 000000003718: 0B61612C
	v_mul_f32_e32 v177, v44, v177                              // 00000000371C: 0B63632C
	v_mul_f32_e32 v178, v44, v178                              // 000000003720: 0B65652C
	v_mul_f32_e32 v179, v44, v179                              // 000000003724: 0B67672C
	v_mul_f32_e32 v180, v44, v180                              // 000000003728: 0B69692C
	v_mul_f32_e32 v181, v44, v181                              // 00000000372C: 0B6B6B2C
	v_mul_f32_e32 v182, v44, v182                              // 000000003730: 0B6D6D2C
	v_mul_f32_e32 v183, v44, v183                              // 000000003734: 0B6F6F2C
	s_waitcnt lgkmcnt(0)                                       // 000000003738: BF8CC07F
	v_max3_f32 v48, v64, v65, v48                              // 00000000373C: D1D30030 04C28340
	v_max3_f32 v48, v66, v67, v48                              // 000000003744: D1D30030 04C28742
	v_max3_f32 v48, v68, v69, v48                              // 00000000374C: D1D30030 04C28B44
	v_max3_f32 v48, v70, v71, v48                              // 000000003754: D1D30030 04C28F46
	v_max3_f32 v48, v72, v73, v48                              // 00000000375C: D1D30030 04C29348
	v_max3_f32 v48, v74, v75, v48                              // 000000003764: D1D30030 04C2974A
	v_max3_f32 v48, v76, v77, v48                              // 00000000376C: D1D30030 04C29B4C
	v_max3_f32 v48, v78, v79, v48                              // 000000003774: D1D30030 04C29F4E
	buffer_load_dwordx4 a[64:67], v30, s[20:23], 0 offen       // 00000000377C: E05C1000 8085401E
	v_mov_b32_e32 v64, 0xff800000                              // 000000003784: 7E8002FF FF800000
	v_cmp_eq_u32_e64 s[40:41], v64, v11                        // 00000000378C: D0CA0028 00021740
	s_nop 1                                                    // 000000003794: BF800001
	v_max_f32_e32 v15, v48, v11                                // 000000003798: 161E1730
	v_mul_f32_e32 v53, s64, v15                                // 00000000379C: 0A6A1E40
	v_fma_f32 v112, v112, s64, -v53                            // 0000000037A0: D1CB0070 84D48170
	v_fma_f32 v113, v113, s64, -v53                            // 0000000037A8: D1CB0071 84D48171
	v_fma_f32 v114, v114, s64, -v53                            // 0000000037B0: D1CB0072 84D48172
	v_fma_f32 v115, v115, s64, -v53                            // 0000000037B8: D1CB0073 84D48173
	v_fma_f32 v116, v116, s64, -v53                            // 0000000037C0: D1CB0074 84D48174
	v_fma_f32 v117, v117, s64, -v53                            // 0000000037C8: D1CB0075 84D48175
	v_fma_f32 v118, v118, s64, -v53                            // 0000000037D0: D1CB0076 84D48176
	v_fma_f32 v119, v119, s64, -v53                            // 0000000037D8: D1CB0077 84D48177
	v_fma_f32 v120, v120, s64, -v53                            // 0000000037E0: D1CB0078 84D48178
	v_fma_f32 v121, v121, s64, -v53                            // 0000000037E8: D1CB0079 84D48179
	v_fma_f32 v122, v122, s64, -v53                            // 0000000037F0: D1CB007A 84D4817A
	v_fma_f32 v123, v123, s64, -v53                            // 0000000037F8: D1CB007B 84D4817B
	v_fma_f32 v124, v124, s64, -v53                            // 000000003800: D1CB007C 84D4817C
	v_fma_f32 v125, v125, s64, -v53                            // 000000003808: D1CB007D 84D4817D
	v_fma_f32 v126, v126, s64, -v53                            // 000000003810: D1CB007E 84D4817E
	v_fma_f32 v127, v127, s64, -v53                            // 000000003818: D1CB007F 84D4817F
	buffer_load_dwordx4 a[68:71], v31, s[20:23], 0 offen       // 000000003820: E05C1000 8085441F
	v_exp_f32_e32 v112, v112                                   // 000000003828: 7EE04170
	v_exp_f32_e32 v113, v113                                   // 00000000382C: 7EE24171
	v_exp_f32_e32 v114, v114                                   // 000000003830: 7EE44172
	v_exp_f32_e32 v115, v115                                   // 000000003834: 7EE64173
	v_exp_f32_e32 v116, v116                                   // 000000003838: 7EE84174
	v_exp_f32_e32 v117, v117                                   // 00000000383C: 7EEA4175
	v_exp_f32_e32 v118, v118                                   // 000000003840: 7EEC4176
	v_exp_f32_e32 v119, v119                                   // 000000003844: 7EEE4177
	v_exp_f32_e32 v120, v120                                   // 000000003848: 7EF04178
	v_exp_f32_e32 v121, v121                                   // 00000000384C: 7EF24179
	v_exp_f32_e32 v122, v122                                   // 000000003850: 7EF4417A
	v_exp_f32_e32 v123, v123                                   // 000000003854: 7EF6417B
	v_exp_f32_e32 v124, v124                                   // 000000003858: 7EF8417C
	v_exp_f32_e32 v125, v125                                   // 00000000385C: 7EFA417D
	v_exp_f32_e32 v126, v126                                   // 000000003860: 7EFC417E
	v_exp_f32_e32 v127, v127                                   // 000000003864: 7EFE417F
	buffer_load_dwordx4 a[72:75], v32, s[20:23], 0 offen       // 000000003868: E05C1000 80854820
	v_mul_f32_dpp v240, v252, v112 quad_perm:[0,0,0,0] row_mask:0xf bank_mask:0xf// 000000003870: 0BE0E0FA FF0000FC
	v_mul_f32_dpp v241, v252, v113 quad_perm:[1,1,1,1] row_mask:0xf bank_mask:0xf// 000000003878: 0BE2E2FA FF0055FC
	v_mul_f32_dpp v242, v252, v114 quad_perm:[2,2,2,2] row_mask:0xf bank_mask:0xf// 000000003880: 0BE4E4FA FF00AAFC
	v_mul_f32_dpp v243, v252, v115 quad_perm:[3,3,3,3] row_mask:0xf bank_mask:0xf// 000000003888: 0BE6E6FA FF00FFFC
	v_mul_f32_dpp v244, v253, v116 quad_perm:[0,0,0,0] row_mask:0xf bank_mask:0xf// 000000003890: 0BE8E8FA FF0000FD
	v_mul_f32_dpp v245, v253, v117 quad_perm:[1,1,1,1] row_mask:0xf bank_mask:0xf// 000000003898: 0BEAEAFA FF0055FD
	v_mul_f32_dpp v246, v253, v118 quad_perm:[2,2,2,2] row_mask:0xf bank_mask:0xf// 0000000038A0: 0BECECFA FF00AAFD
	v_mul_f32_dpp v247, v253, v119 quad_perm:[3,3,3,3] row_mask:0xf bank_mask:0xf// 0000000038A8: 0BEEEEFA FF00FFFD
	v_mul_f32_dpp v248, v254, v120 quad_perm:[0,0,0,0] row_mask:0xf bank_mask:0xf// 0000000038B0: 0BF0F0FA FF0000FE
	v_mul_f32_dpp v249, v254, v121 quad_perm:[1,1,1,1] row_mask:0xf bank_mask:0xf// 0000000038B8: 0BF2F2FA FF0055FE
	v_mul_f32_dpp v250, v254, v122 quad_perm:[2,2,2,2] row_mask:0xf bank_mask:0xf// 0000000038C0: 0BF4F4FA FF00AAFE
	v_mul_f32_dpp v251, v254, v123 quad_perm:[3,3,3,3] row_mask:0xf bank_mask:0xf// 0000000038C8: 0BF6F6FA FF00FFFE
	v_mul_f32_dpp v252, v255, v124 quad_perm:[0,0,0,0] row_mask:0xf bank_mask:0xf// 0000000038D0: 0BF8F8FA FF0000FF
	v_mul_f32_dpp v253, v255, v125 quad_perm:[1,1,1,1] row_mask:0xf bank_mask:0xf// 0000000038D8: 0BFAFAFA FF0055FF
	v_mul_f32_dpp v254, v255, v126 quad_perm:[2,2,2,2] row_mask:0xf bank_mask:0xf// 0000000038E0: 0BFCFCFA FF00AAFF
	v_mul_f32_dpp v255, v255, v127 quad_perm:[3,3,3,3] row_mask:0xf bank_mask:0xf// 0000000038E8: 0BFEFEFA FF00FFFF
	v_mov_b32_e32 v48, 0x358637bd                              // 0000000038F0: 7E6002FF 358637BD
	v_max3_f32 v48, |v240|, |v241|, v48                        // 0000000038F8: D1D30330 04C3E3F0
	v_max3_f32 v48, |v242|, |v243|, v48                        // 000000003900: D1D30330 04C3E7F2
	v_max3_f32 v48, |v244|, |v245|, v48                        // 000000003908: D1D30330 04C3EBF4
	v_max3_f32 v48, |v246|, |v247|, v48                        // 000000003910: D1D30330 04C3EFF6
	v_max3_f32 v48, |v248|, |v249|, v48                        // 000000003918: D1D30330 04C3F3F8
	v_max3_f32 v48, |v250|, |v251|, v48                        // 000000003920: D1D30330 04C3F7FA
	v_max3_f32 v48, |v252|, |v253|, v48                        // 000000003928: D1D30330 04C3FBFC
	v_max3_f32 v48, |v254|, |v255|, v48                        // 000000003930: D1D30330 04C3FFFE
	buffer_load_dwordx4 a[76:79], v33, s[20:23], 0 offen       // 000000003938: E05C1000 80854C21
	ds_write_b32 v8, v48 offset:20992                          // 000000003940: D81A5200 00003008
	v_sub_f32_e32 v49, v11, v15                                // 000000003948: 04621F0B
	v_cndmask_b32_e64 v49, v49, 0, s[40:41]                    // 00000000394C: D1000031 00A10131
	v_mov_b32_e32 v11, v15                                     // 000000003954: 7E16030F
	v_mul_f32_e32 v49, s64, v49                                // 000000003958: 0A626240
	v_exp_f32_e32 v49, v49                                     // 00000000395C: 7E624131
	s_waitcnt lgkmcnt(0)                                       // 000000003960: BF8CC07F
	s_barrier                                                  // 000000003964: BF8A0000
	ds_read_b32 v64, v7 offset:20992                           // 000000003968: D86C5200 40000007
	ds_read_b32 v65, v7 offset:21056                           // 000000003970: D86C5240 41000007
	ds_read_b32 v66, v7 offset:21120                           // 000000003978: D86C5280 42000007
	ds_read_b32 v67, v7 offset:21184                           // 000000003980: D86C52C0 43000007
	ds_read_b32 v68, v7 offset:21248                           // 000000003988: D86C5300 44000007
	ds_read_b32 v69, v7 offset:21312                           // 000000003990: D86C5340 45000007
	ds_read_b32 v70, v7 offset:21376                           // 000000003998: D86C5380 46000007
	ds_read_b32 v71, v7 offset:21440                           // 0000000039A0: D86C53C0 47000007
	ds_read_b32 v72, v7 offset:21504                           // 0000000039A8: D86C5400 48000007
	ds_read_b32 v73, v7 offset:21568                           // 0000000039B0: D86C5440 49000007
	ds_read_b32 v74, v7 offset:21632                           // 0000000039B8: D86C5480 4A000007
	ds_read_b32 v75, v7 offset:21696                           // 0000000039C0: D86C54C0 4B000007
	ds_read_b32 v76, v7 offset:21760                           // 0000000039C8: D86C5500 4C000007
	ds_read_b32 v77, v7 offset:21824                           // 0000000039D0: D86C5540 4D000007
	ds_read_b32 v78, v7 offset:21888                           // 0000000039D8: D86C5580 4E000007
	ds_read_b32 v79, v7 offset:21952                           // 0000000039E0: D86C55C0 4F000007
	v_mul_f32_e32 v38, v49, v38                                // 0000000039E8: 0A4C4D31
	v_mov_b32_e32 v15, v112                                    // 0000000039EC: 7E1E0370
	v_add_f32_e32 v15, v113, v15                               // 0000000039F0: 021E1F71
	v_add_f32_e32 v15, v114, v15                               // 0000000039F4: 021E1F72
	v_add_f32_e32 v15, v115, v15                               // 0000000039F8: 021E1F73
	v_add_f32_e32 v15, v116, v15                               // 0000000039FC: 021E1F74
	v_add_f32_e32 v15, v117, v15                               // 000000003A00: 021E1F75
	v_add_f32_e32 v15, v118, v15                               // 000000003A04: 021E1F76
	v_add_f32_e32 v15, v119, v15                               // 000000003A08: 021E1F77
	v_add_f32_e32 v15, v120, v15                               // 000000003A0C: 021E1F78
	v_add_f32_e32 v15, v121, v15                               // 000000003A10: 021E1F79
	v_add_f32_e32 v15, v122, v15                               // 000000003A14: 021E1F7A
	v_add_f32_e32 v15, v123, v15                               // 000000003A18: 021E1F7B
	v_add_f32_e32 v15, v124, v15                               // 000000003A1C: 021E1F7C
	v_add_f32_e32 v15, v125, v15                               // 000000003A20: 021E1F7D
	v_add_f32_e32 v15, v126, v15                               // 000000003A24: 021E1F7E
	v_add_f32_e32 v15, v127, v15                               // 000000003A28: 021E1F7F
	v_add_f32_e32 v38, v15, v38                                // 000000003A2C: 024C4D0F
	s_waitcnt lgkmcnt(0)                                       // 000000003A30: BF8CC07F
	v_max3_f32 v48, |v64|, |v65|, v48                          // 000000003A34: D1D30330 04C28340
	v_max3_f32 v48, |v66|, |v67|, v48                          // 000000003A3C: D1D30330 04C28742
	v_max3_f32 v48, |v68|, |v69|, v48                          // 000000003A44: D1D30330 04C28B44
	v_max3_f32 v48, |v70|, |v71|, v48                          // 000000003A4C: D1D30330 04C28F46
	v_max3_f32 v48, |v72|, |v73|, v48                          // 000000003A54: D1D30330 04C29348
	v_max3_f32 v48, |v74|, |v75|, v48                          // 000000003A5C: D1D30330 04C2974A
	v_max3_f32 v48, |v76|, |v77|, v48                          // 000000003A64: D1D30330 04C29B4C
	v_max3_f32 v48, |v78|, |v79|, v48                          // 000000003A6C: D1D30330 04C29F4E
	s_nop 2                                                    // 000000003A74: BF800002
	v_rcp_f32_e32 v48, v48                                     // 000000003A78: 7E604530
	s_nop 1                                                    // 000000003A7C: BF800001
	v_mul_f32_e32 v48, 0x43e00000, v48                         // 000000003A80: 0A6060FF 43E00000
	v_mul_f32_e32 v112, v48, v240                              // 000000003A88: 0AE1E130
	v_mul_f32_e32 v113, v48, v241                              // 000000003A8C: 0AE3E330
	v_mul_f32_e32 v114, v48, v242                              // 000000003A90: 0AE5E530
	v_mul_f32_e32 v115, v48, v243                              // 000000003A94: 0AE7E730
	v_mul_f32_e32 v116, v48, v244                              // 000000003A98: 0AE9E930
	v_mul_f32_e32 v117, v48, v245                              // 000000003A9C: 0AEBEB30
	v_mul_f32_e32 v118, v48, v246                              // 000000003AA0: 0AEDED30
	v_mul_f32_e32 v119, v48, v247                              // 000000003AA4: 0AEFEF30
	v_mul_f32_e32 v120, v48, v248                              // 000000003AA8: 0AF1F130
	v_mul_f32_e32 v121, v48, v249                              // 000000003AAC: 0AF3F330
	v_mul_f32_e32 v122, v48, v250                              // 000000003AB0: 0AF5F530
	v_mul_f32_e32 v123, v48, v251                              // 000000003AB4: 0AF7F730
	v_mul_f32_e32 v124, v48, v252                              // 000000003AB8: 0AF9F930
	v_mul_f32_e32 v125, v48, v253                              // 000000003ABC: 0AFBFB30
	v_mul_f32_e32 v126, v48, v254                              // 000000003AC0: 0AFDFD30
	v_mul_f32_e32 v127, v48, v255                              // 000000003AC4: 0AFFFF30
	v_cvt_pk_fp8_f32 v112, v112, v113                          // 000000003AC8: D2A20070 0002E370
	v_cvt_pk_fp8_f32 v112, v114, v115 op_sel:[0,0,1]           // 000000003AD0: D2A24070 0002E772
	v_cvt_pk_fp8_f32 v113, v116, v117                          // 000000003AD8: D2A20071 0002EB74
	v_cvt_pk_fp8_f32 v113, v118, v119 op_sel:[0,0,1]           // 000000003AE0: D2A24071 0002EF76
	v_cvt_pk_fp8_f32 v114, v120, v121                          // 000000003AE8: D2A20072 0002F378
	v_cvt_pk_fp8_f32 v114, v122, v123 op_sel:[0,0,1]           // 000000003AF0: D2A24072 0002F77A
	v_cvt_pk_fp8_f32 v115, v124, v125                          // 000000003AF8: D2A20073 0002FB7C
	v_cvt_pk_fp8_f32 v115, v126, v127 op_sel:[0,0,1]           // 000000003B00: D2A24073 0002FF7E
	ds_write_b32 v10, v112 offset:25088                        // 000000003B08: D81A6200 0000700A
	ds_write_b32 v10, v113 offset:26112                        // 000000003B10: D81A6600 0000710A
	ds_write_b32 v10, v114 offset:27136                        // 000000003B18: D81A6A00 0000720A
	ds_write_b32 v10, v115 offset:28160                        // 000000003B20: D81A6E00 0000730A
	v_add_f32_e32 v208, v208, v176                             // 000000003B28: 03A161D0
	v_add_f32_e32 v209, v209, v177                             // 000000003B2C: 03A363D1
	v_add_f32_e32 v210, v210, v178                             // 000000003B30: 03A565D2
	v_add_f32_e32 v211, v211, v179                             // 000000003B34: 03A767D3
	v_add_f32_e32 v212, v212, v180                             // 000000003B38: 03A969D4
	v_add_f32_e32 v213, v213, v181                             // 000000003B3C: 03AB6BD5
	v_add_f32_e32 v214, v214, v182                             // 000000003B40: 03AD6DD6
	v_add_f32_e32 v215, v215, v183                             // 000000003B44: 03AF6FD7
	v_rcp_f32_e32 v44, v48                                     // 000000003B48: 7E584530
	s_waitcnt lgkmcnt(0)                                       // 000000003B4C: BF8CC07F
	s_barrier                                                  // 000000003B50: BF8A0000
	ds_read_b64 v[112:113], v9 offset:25088                    // 000000003B54: D8EC6200 70000009
	ds_read_b64 v[114:115], v9 offset:25216                    // 000000003B5C: D8EC6280 72000009
	ds_read_b64 v[116:117], v9 offset:26112                    // 000000003B64: D8EC6600 74000009
	ds_read_b64 v[118:119], v9 offset:26240                    // 000000003B6C: D8EC6680 76000009
	ds_read_b64 v[120:121], v9 offset:27136                    // 000000003B74: D8EC6A00 78000009
	ds_read_b64 v[122:123], v9 offset:27264                    // 000000003B7C: D8EC6A80 7A000009
	ds_read_b64 v[124:125], v9 offset:28160                    // 000000003B84: D8EC6E00 7C000009
	ds_read_b64 v[126:127], v9 offset:28288                    // 000000003B8C: D8EC6E80 7E000009
	s_waitcnt vmcnt(15)                                        // 000000003B94: BF8C0F7F
	s_waitcnt lgkmcnt(7)                                       // 000000003B98: BF8CC77F
	v_mfma_f32_16x16x32_fp8_fp8 v[176:179], a[96:97], v[112:113], 0// 000000003B9C: D3F300B0 0A02E160
	s_waitcnt lgkmcnt(6)                                       // 000000003BA4: BF8CC67F
	v_mfma_f32_16x16x32_fp8_fp8 v[176:179], a[98:99], v[114:115], v[176:179]// 000000003BA8: D3F300B0 0EC2E562
	buffer_load_dwordx4 a[80:83], v30, s[20:23], 0 offen offset:1024// 000000003BB0: E05C1400 8085501E
	s_waitcnt lgkmcnt(5)                                       // 000000003BB8: BF8CC57F
	v_mfma_f32_16x16x32_fp8_fp8 v[176:179], a[100:101], v[116:117], v[176:179]// 000000003BBC: D3F300B0 0EC2E964
	s_waitcnt lgkmcnt(4)                                       // 000000003BC4: BF8CC47F
	v_mfma_f32_16x16x32_fp8_fp8 v[176:179], a[102:103], v[118:119], v[176:179]// 000000003BC8: D3F300B0 0EC2ED66
	s_waitcnt lgkmcnt(3)                                       // 000000003BD0: BF8CC37F
	v_mfma_f32_16x16x32_fp8_fp8 v[176:179], a[104:105], v[120:121], v[176:179]// 000000003BD4: D3F300B0 0EC2F168
	s_waitcnt lgkmcnt(2)                                       // 000000003BDC: BF8CC27F
	v_mfma_f32_16x16x32_fp8_fp8 v[176:179], a[106:107], v[122:123], v[176:179]// 000000003BE0: D3F300B0 0EC2F56A
	buffer_load_dwordx4 a[84:87], v31, s[20:23], 0 offen offset:1024// 000000003BE8: E05C1400 8085541F
	s_waitcnt lgkmcnt(1)                                       // 000000003BF0: BF8CC17F
	v_mfma_f32_16x16x32_fp8_fp8 v[176:179], a[108:109], v[124:125], v[176:179]// 000000003BF4: D3F300B0 0EC2F96C
	s_waitcnt lgkmcnt(0)                                       // 000000003BFC: BF8CC07F
	v_mfma_f32_16x16x32_fp8_fp8 v[176:179], a[110:111], v[126:127], v[176:179]// 000000003C00: D3F300B0 0EC2FD6E
	v_mfma_f32_16x16x32_fp8_fp8 v[180:183], a[112:113], v[112:113], 0// 000000003C08: D3F300B4 0A02E170
	v_mfma_f32_16x16x32_fp8_fp8 v[180:183], a[114:115], v[114:115], v[180:183]// 000000003C10: D3F300B4 0ED2E572
	buffer_load_dwordx4 a[88:91], v32, s[20:23], 0 offen offset:1024// 000000003C18: E05C1400 80855820
	v_mfma_f32_16x16x32_fp8_fp8 v[180:183], a[116:117], v[116:117], v[180:183]// 000000003C20: D3F300B4 0ED2E974
	v_mfma_f32_16x16x32_fp8_fp8 v[180:183], a[118:119], v[118:119], v[180:183]// 000000003C28: D3F300B4 0ED2ED76
	v_mfma_f32_16x16x32_fp8_fp8 v[180:183], a[120:121], v[120:121], v[180:183]// 000000003C30: D3F300B4 0ED2F178
	v_mfma_f32_16x16x32_fp8_fp8 v[180:183], a[122:123], v[122:123], v[180:183]// 000000003C38: D3F300B4 0ED2F57A
	buffer_load_dwordx4 a[92:95], v33, s[20:23], 0 offen offset:1024// 000000003C40: E05C1400 80855C21
	v_mfma_f32_16x16x32_fp8_fp8 v[180:183], a[124:125], v[124:125], v[180:183]// 000000003C48: D3F300B4 0ED2F97C
	s_lshr_b32 s57, s70, 4                                     // 000000003C50: 8F398446
	s_add_u32 s57, 48, s57                                     // 000000003C54: 803939B0
	v_mfma_f32_16x16x32_fp8_fp8 v[180:183], a[126:127], v[126:127], v[180:183]// 000000003C58: D3F300B4 0ED2FD7E
	s_cmp_ge_u32 s57, s73                                      // 000000003C60: BF094939
	s_cselect_b32 s56, 0, s56                                  // 000000003C64: 85383880
	v_add_u32_e32 v1, s56, v1                                  // 000000003C68: 68020238
	s_addk_i32 s70, 0x100                                      // 000000003C6C: B7460100
	s_cmp_lt_i32 s70, s71                                      // 000000003C70: BF044746
	s_cbranch_scc0 label_069F                                  // 000000003C74: BF840001
	s_branch label_0202                                        // 000000003C78: BF82FB63

0000000000003c7c <label_069F>:
	s_nop 0                                                    // 000000003C7C: BF800000
	s_nop 0                                                    // 000000003C80: BF800000
	s_branch label_0B3F                                        // 000000003C84: BF82049D

0000000000003c88 <label_06A2>:
	s_waitcnt vmcnt(8) lgkmcnt(0)                              // 000000003C88: BF8C0078
	v_mul_u32_u24_dpp v64, v17, v54 row_newbcast:0 row_mask:0xf bank_mask:0xf// 000000003C8C: 10806CFA FF015011
	v_mul_u32_u24_dpp v65, v17, v54 row_newbcast:4 row_mask:0xf bank_mask:0xf// 000000003C94: 10826CFA FF015411
	v_mul_u32_u24_dpp v66, v17, v54 row_newbcast:8 row_mask:0xf bank_mask:0xf// 000000003C9C: 10846CFA FF015811
	v_mul_u32_u24_dpp v67, v17, v54 row_newbcast:12 row_mask:0xf bank_mask:0xf// 000000003CA4: 10866CFA FF015C11
	v_add_u32_e32 v26, v64, v5                                 // 000000003CAC: 68340B40
	v_add_u32_e32 v27, v65, v5                                 // 000000003CB0: 68360B41
	v_add_u32_e32 v28, v66, v5                                 // 000000003CB4: 68380B42
	v_add_u32_e32 v29, v67, v5                                 // 000000003CB8: 683A0B43
	v_mul_u32_u24_dpp v64, v17, v63 quad_perm:[0,0,0,0] row_mask:0xf bank_mask:0xf// 000000003CBC: 10807EFA FF000011
	v_add_u32_e32 v3, v64, v59                                 // 000000003CC4: 68067740
	v_mul_u32_u24_dpp v64, v17, v63 quad_perm:[0,0,0,0] row_mask:0xf bank_mask:0xf// 000000003CC8: 10807EFA FF000011
	v_add_u32_e32 v56, v64, v60                                // 000000003CD0: 68707940
	v_mfma_f32_16x16x32_fp8_fp8 v[112:115], a[0:1], v[80:81], 0// 000000003CD4: D3F30070 0A02A100
	buffer_load_dwordx4 a[32:35], v26, s[16:19], 0 offen       // 000000003CDC: E05C1000 8084201A
	v_mfma_f32_16x16x32_fp8_fp8 v[112:115], a[2:3], v[82:83], v[112:115]// 000000003CE4: D3F30070 0DC2A502
	v_mfma_f32_16x16x32_fp8_fp8 v[112:115], a[4:5], v[84:85], v[112:115]// 000000003CEC: D3F30070 0DC2A904
	buffer_load_dword v16, v1, s[24:27], 0 offen               // 000000003CF4: E0501000 80061001
	v_mfma_f32_16x16x32_fp8_fp8 v[112:115], a[6:7], v[86:87], v[112:115]// 000000003CFC: D3F30070 0DC2AD06
	v_mfma_f32_16x16x32_fp8_fp8 v[116:119], a[8:9], v[80:81], 0// 000000003D04: D3F30074 0A02A108
	buffer_load_dwordx4 a[36:39], v26, s[16:19], 0 offen offset:1024// 000000003D0C: E05C1400 8084241A
	v_mfma_f32_16x16x32_fp8_fp8 v[116:119], a[10:11], v[82:83], v[116:119]// 000000003D14: D3F30074 0DD2A50A
	v_mfma_f32_16x16x32_fp8_fp8 v[116:119], a[12:13], v[84:85], v[116:119]// 000000003D1C: D3F30074 0DD2A90C
	v_mfma_f32_16x16x32_fp8_fp8 v[116:119], a[14:15], v[86:87], v[116:119]// 000000003D24: D3F30074 0DD2AD0E
	v_mfma_f32_16x16x32_fp8_fp8 v[120:123], a[16:17], v[80:81], 0// 000000003D2C: D3F30078 0A02A110
	buffer_load_dwordx4 a[40:43], v27, s[16:19], 0 offen       // 000000003D34: E05C1000 8084281B
	v_mfma_f32_16x16x32_fp8_fp8 v[120:123], a[18:19], v[82:83], v[120:123]// 000000003D3C: D3F30078 0DE2A512
	v_mfma_f32_16x16x32_fp8_fp8 v[120:123], a[20:21], v[84:85], v[120:123]// 000000003D44: D3F30078 0DE2A914
	v_mfma_f32_16x16x32_fp8_fp8 v[120:123], a[22:23], v[86:87], v[120:123]// 000000003D4C: D3F30078 0DE2AD16
	v_mfma_f32_16x16x32_fp8_fp8 v[124:127], a[24:25], v[80:81], 0// 000000003D54: D3F3007C 0A02A118
	buffer_load_dwordx4 a[44:47], v27, s[16:19], 0 offen offset:1024// 000000003D5C: E05C1400 80842C1B
	v_mfma_f32_16x16x32_fp8_fp8 v[124:127], a[26:27], v[82:83], v[124:127]// 000000003D64: D3F3007C 0DF2A51A
	v_mfma_f32_16x16x32_fp8_fp8 v[124:127], a[28:29], v[84:85], v[124:127]// 000000003D6C: D3F3007C 0DF2A91C
	v_mfma_f32_16x16x32_fp8_fp8 v[124:127], a[30:31], v[86:87], v[124:127]// 000000003D74: D3F3007C 0DF2AD1E
	buffer_load_dword v43, v3, s[32:35], 0 offen               // 000000003D7C: E0501000 80082B03
	v_mov_b32_dpp v64, v42 row_shr:4 row_mask:0xf bank_mask:0xf// 000000003D84: 7E8002FA FF01142A
	v_mov_b32_dpp v65, v42 row_shl:4 row_mask:0xf bank_mask:0xf// 000000003D8C: 7E8202FA FF01042A
	v_cndmask_b32_e64 v248, v42, v64, s[44:45]                 // 000000003D94: D10000F8 00B2812A
	v_cndmask_b32_e64 v249, v65, v42, s[44:45]                 // 000000003D9C: D10000F9 00B25541
	v_mov_b32_dpp v64, v248 row_shr:8 row_mask:0xf bank_mask:0xf// 000000003DA4: 7E8002FA FF0118F8
	v_mov_b32_dpp v65, v248 row_shl:8 row_mask:0xf bank_mask:0xf// 000000003DAC: 7E8202FA FF0108F8
	v_mov_b32_dpp v66, v249 row_shr:8 row_mask:0xf bank_mask:0xf// 000000003DB4: 7E8402FA FF0118F9
	v_mov_b32_dpp v67, v249 row_shl:8 row_mask:0xf bank_mask:0xf// 000000003DBC: 7E8602FA FF0108F9
	v_mov_b32_e32 v68, v248                                    // 000000003DC4: 7E8803F8
	v_mov_b32_e32 v69, v249                                    // 000000003DC8: 7E8A03F9
	v_cndmask_b32_e64 v248, v68, v64, s[42:43]                 // 000000003DCC: D10000F8 00AA8144
	v_cndmask_b32_e64 v250, v68, v65, s[78:79]                 // 000000003DD4: D10000FA 013A8344
	v_cndmask_b32_e64 v249, v69, v66, s[42:43]                 // 000000003DDC: D10000F9 00AA8545
	v_cndmask_b32_e64 v251, v69, v67, s[78:79]                 // 000000003DE4: D10000FB 013A8745
	v_mov_b32_dpp v64, v57 row_shr:4 row_mask:0xf bank_mask:0xf// 000000003DEC: 7E8002FA FF011439
	v_mov_b32_dpp v65, v57 row_shl:4 row_mask:0xf bank_mask:0xf// 000000003DF4: 7E8202FA FF010439
	v_cndmask_b32_e64 v252, v57, v64, s[44:45]                 // 000000003DFC: D10000FC 00B28139
	v_cndmask_b32_e64 v253, v65, v57, s[44:45]                 // 000000003E04: D10000FD 00B27341
	v_mov_b32_dpp v64, v252 row_shr:8 row_mask:0xf bank_mask:0xf// 000000003E0C: 7E8002FA FF0118FC
	v_mov_b32_dpp v65, v252 row_shl:8 row_mask:0xf bank_mask:0xf// 000000003E14: 7E8202FA FF0108FC
	v_mov_b32_dpp v66, v253 row_shr:8 row_mask:0xf bank_mask:0xf// 000000003E1C: 7E8402FA FF0118FD
	v_mov_b32_dpp v67, v253 row_shl:8 row_mask:0xf bank_mask:0xf// 000000003E24: 7E8602FA FF0108FD
	v_mov_b32_e32 v68, v252                                    // 000000003E2C: 7E8803FC
	v_mov_b32_e32 v69, v253                                    // 000000003E30: 7E8A03FD
	v_cndmask_b32_e64 v252, v68, v64, s[42:43]                 // 000000003E34: D10000FC 00AA8144
	v_cndmask_b32_e64 v254, v68, v65, s[78:79]                 // 000000003E3C: D10000FE 013A8344
	v_cndmask_b32_e64 v253, v69, v66, s[42:43]                 // 000000003E44: D10000FD 00AA8545
	v_cndmask_b32_e64 v255, v69, v67, s[78:79]                 // 000000003E4C: D10000FF 013A8745
	buffer_load_dword v58, v56, s[36:39], 0 offen              // 000000003E54: E0501000 80093A38
	v_mul_f32_e32 v112, v18, v112                              // 000000003E5C: 0AE0E112
	v_mul_f32_e32 v113, v18, v113                              // 000000003E60: 0AE2E312
	v_mul_f32_e32 v114, v18, v114                              // 000000003E64: 0AE4E512
	v_mul_f32_e32 v115, v18, v115                              // 000000003E68: 0AE6E712
	v_mul_f32_e32 v116, v18, v116                              // 000000003E6C: 0AE8E912
	v_mul_f32_e32 v117, v18, v117                              // 000000003E70: 0AEAEB12
	v_mul_f32_e32 v118, v18, v118                              // 000000003E74: 0AECED12
	v_mul_f32_e32 v119, v18, v119                              // 000000003E78: 0AEEEF12
	v_mul_f32_e32 v120, v18, v120                              // 000000003E7C: 0AF0F112
	v_mul_f32_e32 v121, v18, v121                              // 000000003E80: 0AF2F312
	v_mul_f32_e32 v122, v18, v122                              // 000000003E84: 0AF4F512
	v_mul_f32_e32 v123, v18, v123                              // 000000003E88: 0AF6F712
	v_mul_f32_e32 v124, v18, v124                              // 000000003E8C: 0AF8F912
	v_mul_f32_e32 v125, v18, v125                              // 000000003E90: 0AFAFB12
	v_mul_f32_e32 v126, v18, v126                              // 000000003E94: 0AFCFD12
	v_mul_f32_e32 v127, v18, v127                              // 000000003E98: 0AFEFF12
	buffer_load_dwordx4 a[48:51], v28, s[16:19], 0 offen       // 000000003E9C: E05C1000 8084301C
	v_mul_f32_dpp v112, v248, v112 quad_perm:[0,0,0,0] row_mask:0xf bank_mask:0xf// 000000003EA4: 0AE0E0FA FF0000F8
	v_mul_f32_dpp v113, v248, v113 quad_perm:[1,1,1,1] row_mask:0xf bank_mask:0xf// 000000003EAC: 0AE2E2FA FF0055F8
	v_mul_f32_dpp v114, v248, v114 quad_perm:[2,2,2,2] row_mask:0xf bank_mask:0xf// 000000003EB4: 0AE4E4FA FF00AAF8
	v_mul_f32_dpp v115, v248, v115 quad_perm:[3,3,3,3] row_mask:0xf bank_mask:0xf// 000000003EBC: 0AE6E6FA FF00FFF8
	v_mul_f32_dpp v116, v249, v116 quad_perm:[0,0,0,0] row_mask:0xf bank_mask:0xf// 000000003EC4: 0AE8E8FA FF0000F9
	v_mul_f32_dpp v117, v249, v117 quad_perm:[1,1,1,1] row_mask:0xf bank_mask:0xf// 000000003ECC: 0AEAEAFA FF0055F9
	v_mul_f32_dpp v118, v249, v118 quad_perm:[2,2,2,2] row_mask:0xf bank_mask:0xf// 000000003ED4: 0AECECFA FF00AAF9
	v_mul_f32_dpp v119, v249, v119 quad_perm:[3,3,3,3] row_mask:0xf bank_mask:0xf// 000000003EDC: 0AEEEEFA FF00FFF9
	v_mul_f32_dpp v120, v250, v120 quad_perm:[0,0,0,0] row_mask:0xf bank_mask:0xf// 000000003EE4: 0AF0F0FA FF0000FA
	v_mul_f32_dpp v121, v250, v121 quad_perm:[1,1,1,1] row_mask:0xf bank_mask:0xf// 000000003EEC: 0AF2F2FA FF0055FA
	v_mul_f32_dpp v122, v250, v122 quad_perm:[2,2,2,2] row_mask:0xf bank_mask:0xf// 000000003EF4: 0AF4F4FA FF00AAFA
	v_mul_f32_dpp v123, v250, v123 quad_perm:[3,3,3,3] row_mask:0xf bank_mask:0xf// 000000003EFC: 0AF6F6FA FF00FFFA
	v_mul_f32_dpp v124, v251, v124 quad_perm:[0,0,0,0] row_mask:0xf bank_mask:0xf// 000000003F04: 0AF8F8FA FF0000FB
	v_mul_f32_dpp v125, v251, v125 quad_perm:[1,1,1,1] row_mask:0xf bank_mask:0xf// 000000003F0C: 0AFAFAFA FF0055FB
	v_mul_f32_dpp v126, v251, v126 quad_perm:[2,2,2,2] row_mask:0xf bank_mask:0xf// 000000003F14: 0AFCFCFA FF00AAFB
	v_mul_f32_dpp v127, v251, v127 quad_perm:[3,3,3,3] row_mask:0xf bank_mask:0xf// 000000003F1C: 0AFEFEFA FF00FFFB
	buffer_load_dwordx4 a[52:55], v28, s[16:19], 0 offen offset:1024// 000000003F24: E05C1400 8084341C
	v_mov_b32_e32 v48, v112                                    // 000000003F2C: 7E600370
	v_max3_f32 v48, v112, v113, v48                            // 000000003F30: D1D30030 04C2E370
	v_max3_f32 v48, v114, v115, v48                            // 000000003F38: D1D30030 04C2E772
	v_max3_f32 v48, v116, v117, v48                            // 000000003F40: D1D30030 04C2EB74
	v_max3_f32 v48, v118, v119, v48                            // 000000003F48: D1D30030 04C2EF76
	v_max3_f32 v48, v120, v121, v48                            // 000000003F50: D1D30030 04C2F378
	v_max3_f32 v48, v122, v123, v48                            // 000000003F58: D1D30030 04C2F77A
	v_max3_f32 v48, v124, v125, v48                            // 000000003F60: D1D30030 04C2FB7C
	v_max3_f32 v48, v126, v127, v48                            // 000000003F68: D1D30030 04C2FF7E
	ds_write_b32 v8, v48 offset:16896                          // 000000003F70: D81A4200 00003008
	buffer_load_dwordx4 a[56:59], v29, s[16:19], 0 offen       // 000000003F78: E05C1000 8084381D
	v_mul_u32_u24_dpp v64, v17, v54 row_newbcast:1 row_mask:0xf bank_mask:0xf// 000000003F80: 10806CFA FF015111
	v_mul_u32_u24_dpp v65, v17, v54 row_newbcast:5 row_mask:0xf bank_mask:0xf// 000000003F88: 10826CFA FF015511
	v_mul_u32_u24_dpp v66, v17, v54 row_newbcast:9 row_mask:0xf bank_mask:0xf// 000000003F90: 10846CFA FF015911
	v_mul_u32_u24_dpp v67, v17, v54 row_newbcast:13 row_mask:0xf bank_mask:0xf// 000000003F98: 10866CFA FF015D11
	v_add_u32_e32 v34, v64, v6                                 // 000000003FA0: 68440D40
	v_add_u32_e32 v35, v65, v6                                 // 000000003FA4: 68460D41
	v_add_u32_e32 v36, v66, v6                                 // 000000003FA8: 68480D42
	v_add_u32_e32 v37, v67, v6                                 // 000000003FAC: 684A0D43
	v_mul_f32_e32 v208, v49, v208                              // 000000003FB0: 0BA1A131
	v_mul_f32_e32 v209, v49, v209                              // 000000003FB4: 0BA3A331
	v_mul_f32_e32 v210, v49, v210                              // 000000003FB8: 0BA5A531
	v_mul_f32_e32 v211, v49, v211                              // 000000003FBC: 0BA7A731
	v_mul_f32_e32 v212, v49, v212                              // 000000003FC0: 0BA9A931
	v_mul_f32_e32 v213, v49, v213                              // 000000003FC4: 0BABAB31
	v_mul_f32_e32 v214, v49, v214                              // 000000003FC8: 0BADAD31
	v_mul_f32_e32 v215, v49, v215                              // 000000003FCC: 0BAFAF31
	s_waitcnt lgkmcnt(0)                                       // 000000003FD0: BF8CC07F
	s_barrier                                                  // 000000003FD4: BF8A0000
	ds_read_b32 v64, v7 offset:16896                           // 000000003FD8: D86C4200 40000007
	ds_read_b32 v65, v7 offset:16960                           // 000000003FE0: D86C4240 41000007
	ds_read_b32 v66, v7 offset:17024                           // 000000003FE8: D86C4280 42000007
	ds_read_b32 v67, v7 offset:17088                           // 000000003FF0: D86C42C0 43000007
	ds_read_b32 v68, v7 offset:17152                           // 000000003FF8: D86C4300 44000007
	ds_read_b32 v69, v7 offset:17216                           // 000000004000: D86C4340 45000007
	ds_read_b32 v70, v7 offset:17280                           // 000000004008: D86C4380 46000007
	ds_read_b32 v71, v7 offset:17344                           // 000000004010: D86C43C0 47000007
	ds_read_b32 v72, v7 offset:17408                           // 000000004018: D86C4400 48000007
	ds_read_b32 v73, v7 offset:17472                           // 000000004020: D86C4440 49000007
	ds_read_b32 v74, v7 offset:17536                           // 000000004028: D86C4480 4A000007
	ds_read_b32 v75, v7 offset:17600                           // 000000004030: D86C44C0 4B000007
	ds_read_b32 v76, v7 offset:17664                           // 000000004038: D86C4500 4C000007
	ds_read_b32 v77, v7 offset:17728                           // 000000004040: D86C4540 4D000007
	ds_read_b32 v78, v7 offset:17792                           // 000000004048: D86C4580 4E000007
	ds_read_b32 v79, v7 offset:17856                           // 000000004050: D86C45C0 4F000007
	buffer_load_dwordx4 a[60:63], v29, s[16:19], 0 offen offset:1024// 000000004058: E05C1400 80843C1D
	v_mul_f32_e32 v176, v44, v176                              // 000000004060: 0B61612C
	v_mul_f32_e32 v177, v44, v177                              // 000000004064: 0B63632C
	v_mul_f32_e32 v178, v44, v178                              // 000000004068: 0B65652C
	v_mul_f32_e32 v179, v44, v179                              // 00000000406C: 0B67672C
	v_mul_f32_e32 v180, v44, v180                              // 000000004070: 0B69692C
	v_mul_f32_e32 v181, v44, v181                              // 000000004074: 0B6B6B2C
	v_mul_f32_e32 v182, v44, v182                              // 000000004078: 0B6D6D2C
	v_mul_f32_e32 v183, v44, v183                              // 00000000407C: 0B6F6F2C
	s_waitcnt lgkmcnt(0)                                       // 000000004080: BF8CC07F
	v_max3_f32 v48, v64, v65, v48                              // 000000004084: D1D30030 04C28340
	v_max3_f32 v48, v66, v67, v48                              // 00000000408C: D1D30030 04C28742
	v_max3_f32 v48, v68, v69, v48                              // 000000004094: D1D30030 04C28B44
	v_max3_f32 v48, v70, v71, v48                              // 00000000409C: D1D30030 04C28F46
	v_max3_f32 v48, v72, v73, v48                              // 0000000040A4: D1D30030 04C29348
	v_max3_f32 v48, v74, v75, v48                              // 0000000040AC: D1D30030 04C2974A
	v_max3_f32 v48, v76, v77, v48                              // 0000000040B4: D1D30030 04C29B4C
	v_max3_f32 v48, v78, v79, v48                              // 0000000040BC: D1D30030 04C29F4E
	buffer_load_dwordx4 a[96:99], v34, s[20:23], 0 offen       // 0000000040C4: E05C1000 80856022
	v_mov_b32_e32 v64, 0xff800000                              // 0000000040CC: 7E8002FF FF800000
	v_cmp_eq_u32_e64 s[40:41], v64, v11                        // 0000000040D4: D0CA0028 00021740
	s_nop 1                                                    // 0000000040DC: BF800001
	v_max_f32_e32 v15, v48, v11                                // 0000000040E0: 161E1730
	v_mul_f32_e32 v53, s64, v15                                // 0000000040E4: 0A6A1E40
	v_fma_f32 v112, v112, s64, -v53                            // 0000000040E8: D1CB0070 84D48170
	v_fma_f32 v113, v113, s64, -v53                            // 0000000040F0: D1CB0071 84D48171
	v_fma_f32 v114, v114, s64, -v53                            // 0000000040F8: D1CB0072 84D48172
	v_fma_f32 v115, v115, s64, -v53                            // 000000004100: D1CB0073 84D48173
	v_fma_f32 v116, v116, s64, -v53                            // 000000004108: D1CB0074 84D48174
	v_fma_f32 v117, v117, s64, -v53                            // 000000004110: D1CB0075 84D48175
	v_fma_f32 v118, v118, s64, -v53                            // 000000004118: D1CB0076 84D48176
	v_fma_f32 v119, v119, s64, -v53                            // 000000004120: D1CB0077 84D48177
	v_fma_f32 v120, v120, s64, -v53                            // 000000004128: D1CB0078 84D48178
	v_fma_f32 v121, v121, s64, -v53                            // 000000004130: D1CB0079 84D48179
	v_fma_f32 v122, v122, s64, -v53                            // 000000004138: D1CB007A 84D4817A
	v_fma_f32 v123, v123, s64, -v53                            // 000000004140: D1CB007B 84D4817B
	v_fma_f32 v124, v124, s64, -v53                            // 000000004148: D1CB007C 84D4817C
	v_fma_f32 v125, v125, s64, -v53                            // 000000004150: D1CB007D 84D4817D
	v_fma_f32 v126, v126, s64, -v53                            // 000000004158: D1CB007E 84D4817E
	v_fma_f32 v127, v127, s64, -v53                            // 000000004160: D1CB007F 84D4817F
	buffer_load_dwordx4 a[100:103], v35, s[20:23], 0 offen     // 000000004168: E05C1000 80856423
	v_exp_f32_e32 v112, v112                                   // 000000004170: 7EE04170
	v_exp_f32_e32 v113, v113                                   // 000000004174: 7EE24171
	v_exp_f32_e32 v114, v114                                   // 000000004178: 7EE44172
	v_exp_f32_e32 v115, v115                                   // 00000000417C: 7EE64173
	v_exp_f32_e32 v116, v116                                   // 000000004180: 7EE84174
	v_exp_f32_e32 v117, v117                                   // 000000004184: 7EEA4175
	v_exp_f32_e32 v118, v118                                   // 000000004188: 7EEC4176
	v_exp_f32_e32 v119, v119                                   // 00000000418C: 7EEE4177
	v_exp_f32_e32 v120, v120                                   // 000000004190: 7EF04178
	v_exp_f32_e32 v121, v121                                   // 000000004194: 7EF24179
	v_exp_f32_e32 v122, v122                                   // 000000004198: 7EF4417A
	v_exp_f32_e32 v123, v123                                   // 00000000419C: 7EF6417B
	v_exp_f32_e32 v124, v124                                   // 0000000041A0: 7EF8417C
	v_exp_f32_e32 v125, v125                                   // 0000000041A4: 7EFA417D
	v_exp_f32_e32 v126, v126                                   // 0000000041A8: 7EFC417E
	v_exp_f32_e32 v127, v127                                   // 0000000041AC: 7EFE417F
	buffer_load_dwordx4 a[104:107], v36, s[20:23], 0 offen     // 0000000041B0: E05C1000 80856824
	v_mul_f32_dpp v240, v252, v112 quad_perm:[0,0,0,0] row_mask:0xf bank_mask:0xf// 0000000041B8: 0BE0E0FA FF0000FC
	v_mul_f32_dpp v241, v252, v113 quad_perm:[1,1,1,1] row_mask:0xf bank_mask:0xf// 0000000041C0: 0BE2E2FA FF0055FC
	v_mul_f32_dpp v242, v252, v114 quad_perm:[2,2,2,2] row_mask:0xf bank_mask:0xf// 0000000041C8: 0BE4E4FA FF00AAFC
	v_mul_f32_dpp v243, v252, v115 quad_perm:[3,3,3,3] row_mask:0xf bank_mask:0xf// 0000000041D0: 0BE6E6FA FF00FFFC
	v_mul_f32_dpp v244, v253, v116 quad_perm:[0,0,0,0] row_mask:0xf bank_mask:0xf// 0000000041D8: 0BE8E8FA FF0000FD
	v_mul_f32_dpp v245, v253, v117 quad_perm:[1,1,1,1] row_mask:0xf bank_mask:0xf// 0000000041E0: 0BEAEAFA FF0055FD
	v_mul_f32_dpp v246, v253, v118 quad_perm:[2,2,2,2] row_mask:0xf bank_mask:0xf// 0000000041E8: 0BECECFA FF00AAFD
	v_mul_f32_dpp v247, v253, v119 quad_perm:[3,3,3,3] row_mask:0xf bank_mask:0xf// 0000000041F0: 0BEEEEFA FF00FFFD
	v_mul_f32_dpp v248, v254, v120 quad_perm:[0,0,0,0] row_mask:0xf bank_mask:0xf// 0000000041F8: 0BF0F0FA FF0000FE
	v_mul_f32_dpp v249, v254, v121 quad_perm:[1,1,1,1] row_mask:0xf bank_mask:0xf// 000000004200: 0BF2F2FA FF0055FE
	v_mul_f32_dpp v250, v254, v122 quad_perm:[2,2,2,2] row_mask:0xf bank_mask:0xf// 000000004208: 0BF4F4FA FF00AAFE
	v_mul_f32_dpp v251, v254, v123 quad_perm:[3,3,3,3] row_mask:0xf bank_mask:0xf// 000000004210: 0BF6F6FA FF00FFFE
	v_mul_f32_dpp v252, v255, v124 quad_perm:[0,0,0,0] row_mask:0xf bank_mask:0xf// 000000004218: 0BF8F8FA FF0000FF
	v_mul_f32_dpp v253, v255, v125 quad_perm:[1,1,1,1] row_mask:0xf bank_mask:0xf// 000000004220: 0BFAFAFA FF0055FF
	v_mul_f32_dpp v254, v255, v126 quad_perm:[2,2,2,2] row_mask:0xf bank_mask:0xf// 000000004228: 0BFCFCFA FF00AAFF
	v_mul_f32_dpp v255, v255, v127 quad_perm:[3,3,3,3] row_mask:0xf bank_mask:0xf// 000000004230: 0BFEFEFA FF00FFFF
	v_mov_b32_e32 v48, 0x358637bd                              // 000000004238: 7E6002FF 358637BD
	v_max3_f32 v48, |v240|, |v241|, v48                        // 000000004240: D1D30330 04C3E3F0
	v_max3_f32 v48, |v242|, |v243|, v48                        // 000000004248: D1D30330 04C3E7F2
	v_max3_f32 v48, |v244|, |v245|, v48                        // 000000004250: D1D30330 04C3EBF4
	v_max3_f32 v48, |v246|, |v247|, v48                        // 000000004258: D1D30330 04C3EFF6
	v_max3_f32 v48, |v248|, |v249|, v48                        // 000000004260: D1D30330 04C3F3F8
	v_max3_f32 v48, |v250|, |v251|, v48                        // 000000004268: D1D30330 04C3F7FA
	v_max3_f32 v48, |v252|, |v253|, v48                        // 000000004270: D1D30330 04C3FBFC
	v_max3_f32 v48, |v254|, |v255|, v48                        // 000000004278: D1D30330 04C3FFFE
	buffer_load_dwordx4 a[108:111], v37, s[20:23], 0 offen     // 000000004280: E05C1000 80856C25
	ds_write_b32 v8, v48 offset:20992                          // 000000004288: D81A5200 00003008
	v_sub_f32_e32 v49, v11, v15                                // 000000004290: 04621F0B
	v_cndmask_b32_e64 v49, v49, 0, s[40:41]                    // 000000004294: D1000031 00A10131
	v_mov_b32_e32 v11, v15                                     // 00000000429C: 7E16030F
	v_mul_f32_e32 v49, s64, v49                                // 0000000042A0: 0A626240
	v_exp_f32_e32 v49, v49                                     // 0000000042A4: 7E624131
	s_waitcnt lgkmcnt(0)                                       // 0000000042A8: BF8CC07F
	s_barrier                                                  // 0000000042AC: BF8A0000
	ds_read_b32 v64, v7 offset:20992                           // 0000000042B0: D86C5200 40000007
	ds_read_b32 v65, v7 offset:21056                           // 0000000042B8: D86C5240 41000007
	ds_read_b32 v66, v7 offset:21120                           // 0000000042C0: D86C5280 42000007
	ds_read_b32 v67, v7 offset:21184                           // 0000000042C8: D86C52C0 43000007
	ds_read_b32 v68, v7 offset:21248                           // 0000000042D0: D86C5300 44000007
	ds_read_b32 v69, v7 offset:21312                           // 0000000042D8: D86C5340 45000007
	ds_read_b32 v70, v7 offset:21376                           // 0000000042E0: D86C5380 46000007
	ds_read_b32 v71, v7 offset:21440                           // 0000000042E8: D86C53C0 47000007
	ds_read_b32 v72, v7 offset:21504                           // 0000000042F0: D86C5400 48000007
	ds_read_b32 v73, v7 offset:21568                           // 0000000042F8: D86C5440 49000007
	ds_read_b32 v74, v7 offset:21632                           // 000000004300: D86C5480 4A000007
	ds_read_b32 v75, v7 offset:21696                           // 000000004308: D86C54C0 4B000007
	ds_read_b32 v76, v7 offset:21760                           // 000000004310: D86C5500 4C000007
	ds_read_b32 v77, v7 offset:21824                           // 000000004318: D86C5540 4D000007
	ds_read_b32 v78, v7 offset:21888                           // 000000004320: D86C5580 4E000007
	ds_read_b32 v79, v7 offset:21952                           // 000000004328: D86C55C0 4F000007
	v_mul_f32_e32 v38, v49, v38                                // 000000004330: 0A4C4D31
	v_mov_b32_e32 v15, v112                                    // 000000004334: 7E1E0370
	v_add_f32_e32 v15, v113, v15                               // 000000004338: 021E1F71
	v_add_f32_e32 v15, v114, v15                               // 00000000433C: 021E1F72
	v_add_f32_e32 v15, v115, v15                               // 000000004340: 021E1F73
	v_add_f32_e32 v15, v116, v15                               // 000000004344: 021E1F74
	v_add_f32_e32 v15, v117, v15                               // 000000004348: 021E1F75
	v_add_f32_e32 v15, v118, v15                               // 00000000434C: 021E1F76
	v_add_f32_e32 v15, v119, v15                               // 000000004350: 021E1F77
	v_add_f32_e32 v15, v120, v15                               // 000000004354: 021E1F78
	v_add_f32_e32 v15, v121, v15                               // 000000004358: 021E1F79
	v_add_f32_e32 v15, v122, v15                               // 00000000435C: 021E1F7A
	v_add_f32_e32 v15, v123, v15                               // 000000004360: 021E1F7B
	v_add_f32_e32 v15, v124, v15                               // 000000004364: 021E1F7C
	v_add_f32_e32 v15, v125, v15                               // 000000004368: 021E1F7D
	v_add_f32_e32 v15, v126, v15                               // 00000000436C: 021E1F7E
	v_add_f32_e32 v15, v127, v15                               // 000000004370: 021E1F7F
	v_add_f32_e32 v38, v15, v38                                // 000000004374: 024C4D0F
	s_waitcnt lgkmcnt(0)                                       // 000000004378: BF8CC07F
	v_max3_f32 v48, |v64|, |v65|, v48                          // 00000000437C: D1D30330 04C28340
	v_max3_f32 v48, |v66|, |v67|, v48                          // 000000004384: D1D30330 04C28742
	v_max3_f32 v48, |v68|, |v69|, v48                          // 00000000438C: D1D30330 04C28B44
	v_max3_f32 v48, |v70|, |v71|, v48                          // 000000004394: D1D30330 04C28F46
	v_max3_f32 v48, |v72|, |v73|, v48                          // 00000000439C: D1D30330 04C29348
	v_max3_f32 v48, |v74|, |v75|, v48                          // 0000000043A4: D1D30330 04C2974A
	v_max3_f32 v48, |v76|, |v77|, v48                          // 0000000043AC: D1D30330 04C29B4C
	v_max3_f32 v48, |v78|, |v79|, v48                          // 0000000043B4: D1D30330 04C29F4E
	s_nop 2                                                    // 0000000043BC: BF800002
	v_rcp_f32_e32 v48, v48                                     // 0000000043C0: 7E604530
	s_nop 1                                                    // 0000000043C4: BF800001
	v_mul_f32_e32 v48, 0x43e00000, v48                         // 0000000043C8: 0A6060FF 43E00000
	v_mul_f32_e32 v112, v48, v240                              // 0000000043D0: 0AE1E130
	v_mul_f32_e32 v113, v48, v241                              // 0000000043D4: 0AE3E330
	v_mul_f32_e32 v114, v48, v242                              // 0000000043D8: 0AE5E530
	v_mul_f32_e32 v115, v48, v243                              // 0000000043DC: 0AE7E730
	v_mul_f32_e32 v116, v48, v244                              // 0000000043E0: 0AE9E930
	v_mul_f32_e32 v117, v48, v245                              // 0000000043E4: 0AEBEB30
	v_mul_f32_e32 v118, v48, v246                              // 0000000043E8: 0AEDED30
	v_mul_f32_e32 v119, v48, v247                              // 0000000043EC: 0AEFEF30
	v_mul_f32_e32 v120, v48, v248                              // 0000000043F0: 0AF1F130
	v_mul_f32_e32 v121, v48, v249                              // 0000000043F4: 0AF3F330
	v_mul_f32_e32 v122, v48, v250                              // 0000000043F8: 0AF5F530
	v_mul_f32_e32 v123, v48, v251                              // 0000000043FC: 0AF7F730
	v_mul_f32_e32 v124, v48, v252                              // 000000004400: 0AF9F930
	v_mul_f32_e32 v125, v48, v253                              // 000000004404: 0AFBFB30
	v_mul_f32_e32 v126, v48, v254                              // 000000004408: 0AFDFD30
	v_mul_f32_e32 v127, v48, v255                              // 00000000440C: 0AFFFF30
	v_cvt_pk_fp8_f32 v112, v112, v113                          // 000000004410: D2A20070 0002E370
	v_cvt_pk_fp8_f32 v112, v114, v115 op_sel:[0,0,1]           // 000000004418: D2A24070 0002E772
	v_cvt_pk_fp8_f32 v113, v116, v117                          // 000000004420: D2A20071 0002EB74
	v_cvt_pk_fp8_f32 v113, v118, v119 op_sel:[0,0,1]           // 000000004428: D2A24071 0002EF76
	v_cvt_pk_fp8_f32 v114, v120, v121                          // 000000004430: D2A20072 0002F378
	v_cvt_pk_fp8_f32 v114, v122, v123 op_sel:[0,0,1]           // 000000004438: D2A24072 0002F77A
	v_cvt_pk_fp8_f32 v115, v124, v125                          // 000000004440: D2A20073 0002FB7C
	v_cvt_pk_fp8_f32 v115, v126, v127 op_sel:[0,0,1]           // 000000004448: D2A24073 0002FF7E
	ds_write_b32 v10, v112 offset:25088                        // 000000004450: D81A6200 0000700A
	ds_write_b32 v10, v113 offset:26112                        // 000000004458: D81A6600 0000710A
	ds_write_b32 v10, v114 offset:27136                        // 000000004460: D81A6A00 0000720A
	ds_write_b32 v10, v115 offset:28160                        // 000000004468: D81A6E00 0000730A
	v_add_f32_e32 v208, v208, v176                             // 000000004470: 03A161D0
	v_add_f32_e32 v209, v209, v177                             // 000000004474: 03A363D1
	v_add_f32_e32 v210, v210, v178                             // 000000004478: 03A565D2
	v_add_f32_e32 v211, v211, v179                             // 00000000447C: 03A767D3
	v_add_f32_e32 v212, v212, v180                             // 000000004480: 03A969D4
	v_add_f32_e32 v213, v213, v181                             // 000000004484: 03AB6BD5
	v_add_f32_e32 v214, v214, v182                             // 000000004488: 03AD6DD6
	v_add_f32_e32 v215, v215, v183                             // 00000000448C: 03AF6FD7
	v_rcp_f32_e32 v44, v48                                     // 000000004490: 7E584530
	s_waitcnt lgkmcnt(0)                                       // 000000004494: BF8CC07F
	s_barrier                                                  // 000000004498: BF8A0000
	ds_read_b64 v[112:113], v9 offset:25088                    // 00000000449C: D8EC6200 70000009
	ds_read_b64 v[114:115], v9 offset:25216                    // 0000000044A4: D8EC6280 72000009
	ds_read_b64 v[116:117], v9 offset:26112                    // 0000000044AC: D8EC6600 74000009
	ds_read_b64 v[118:119], v9 offset:26240                    // 0000000044B4: D8EC6680 76000009
	ds_read_b64 v[120:121], v9 offset:27136                    // 0000000044BC: D8EC6A00 78000009
	ds_read_b64 v[122:123], v9 offset:27264                    // 0000000044C4: D8EC6A80 7A000009
	ds_read_b64 v[124:125], v9 offset:28160                    // 0000000044CC: D8EC6E00 7C000009
	ds_read_b64 v[126:127], v9 offset:28288                    // 0000000044D4: D8EC6E80 7E000009
	s_waitcnt vmcnt(15)                                        // 0000000044DC: BF8C0F7F
	s_waitcnt lgkmcnt(7)                                       // 0000000044E0: BF8CC77F
	v_mfma_f32_16x16x32_fp8_fp8 v[176:179], a[64:65], v[112:113], 0// 0000000044E4: D3F300B0 0A02E140
	buffer_load_dwordx4 a[112:115], v34, s[20:23], 0 offen offset:1024// 0000000044EC: E05C1400 80857022
	s_waitcnt lgkmcnt(6)                                       // 0000000044F4: BF8CC67F
	v_mfma_f32_16x16x32_fp8_fp8 v[176:179], a[66:67], v[114:115], v[176:179]// 0000000044F8: D3F300B0 0EC2E542
	s_waitcnt lgkmcnt(5)                                       // 000000004500: BF8CC57F
	v_mfma_f32_16x16x32_fp8_fp8 v[176:179], a[68:69], v[116:117], v[176:179]// 000000004504: D3F300B0 0EC2E944
	s_waitcnt lgkmcnt(4)                                       // 00000000450C: BF8CC47F
	v_mfma_f32_16x16x32_fp8_fp8 v[176:179], a[70:71], v[118:119], v[176:179]// 000000004510: D3F300B0 0EC2ED46
	s_waitcnt lgkmcnt(3)                                       // 000000004518: BF8CC37F
	v_mfma_f32_16x16x32_fp8_fp8 v[176:179], a[72:73], v[120:121], v[176:179]// 00000000451C: D3F300B0 0EC2F148
	buffer_load_dwordx4 a[116:119], v35, s[20:23], 0 offen offset:1024// 000000004524: E05C1400 80857423
	s_waitcnt lgkmcnt(2)                                       // 00000000452C: BF8CC27F
	v_mfma_f32_16x16x32_fp8_fp8 v[176:179], a[74:75], v[122:123], v[176:179]// 000000004530: D3F300B0 0EC2F54A
	s_waitcnt lgkmcnt(1)                                       // 000000004538: BF8CC17F
	v_mfma_f32_16x16x32_fp8_fp8 v[176:179], a[76:77], v[124:125], v[176:179]// 00000000453C: D3F300B0 0EC2F94C
	s_waitcnt lgkmcnt(0)                                       // 000000004544: BF8CC07F
	v_mfma_f32_16x16x32_fp8_fp8 v[176:179], a[78:79], v[126:127], v[176:179]// 000000004548: D3F300B0 0EC2FD4E
	v_mfma_f32_16x16x32_fp8_fp8 v[180:183], a[80:81], v[112:113], 0// 000000004550: D3F300B4 0A02E150
	buffer_load_dwordx4 a[120:123], v36, s[20:23], 0 offen offset:1024// 000000004558: E05C1400 80857824
	v_mfma_f32_16x16x32_fp8_fp8 v[180:183], a[82:83], v[114:115], v[180:183]// 000000004560: D3F300B4 0ED2E552
	v_mfma_f32_16x16x32_fp8_fp8 v[180:183], a[84:85], v[116:117], v[180:183]// 000000004568: D3F300B4 0ED2E954
	v_mfma_f32_16x16x32_fp8_fp8 v[180:183], a[86:87], v[118:119], v[180:183]// 000000004570: D3F300B4 0ED2ED56
	v_mfma_f32_16x16x32_fp8_fp8 v[180:183], a[88:89], v[120:121], v[180:183]// 000000004578: D3F300B4 0ED2F158
	buffer_load_dwordx4 a[124:127], v37, s[20:23], 0 offen offset:1024// 000000004580: E05C1400 80857C25
	v_mfma_f32_16x16x32_fp8_fp8 v[180:183], a[90:91], v[122:123], v[180:183]// 000000004588: D3F300B4 0ED2F55A
	v_mfma_f32_16x16x32_fp8_fp8 v[180:183], a[92:93], v[124:125], v[180:183]// 000000004590: D3F300B4 0ED2F95C
	s_lshr_b32 s57, s70, 4                                     // 000000004598: 8F398446
	s_add_u32 s57, 48, s57                                     // 00000000459C: 803939B0
	v_mfma_f32_16x16x32_fp8_fp8 v[180:183], a[94:95], v[126:127], v[180:183]// 0000000045A0: D3F300B4 0ED2FD5E
	s_cmp_ge_u32 s57, s73                                      // 0000000045A8: BF094939
	s_cselect_b32 s56, 0, s56                                  // 0000000045AC: 85383880
	v_add_u32_e32 v1, s56, v1                                  // 0000000045B0: 68020238
	s_addk_i32 s70, 0x100                                      // 0000000045B4: B7460100
	s_cmp_lt_i32 s70, s71                                      // 0000000045B8: BF044746
	s_cbranch_scc0 label_069F                                  // 0000000045BC: BF84FDAF
	s_waitcnt vmcnt(8) lgkmcnt(0)                              // 0000000045C0: BF8C0078
	v_mul_u32_u24_dpp v64, v16, v54 row_newbcast:0 row_mask:0xf bank_mask:0xf// 0000000045C4: 10806CFA FF015010
	v_mul_u32_u24_dpp v65, v16, v54 row_newbcast:4 row_mask:0xf bank_mask:0xf// 0000000045CC: 10826CFA FF015410
	v_mul_u32_u24_dpp v66, v16, v54 row_newbcast:8 row_mask:0xf bank_mask:0xf// 0000000045D4: 10846CFA FF015810
	v_mul_u32_u24_dpp v67, v16, v54 row_newbcast:12 row_mask:0xf bank_mask:0xf// 0000000045DC: 10866CFA FF015C10
	v_add_u32_e32 v22, v64, v5                                 // 0000000045E4: 682C0B40
	v_add_u32_e32 v23, v65, v5                                 // 0000000045E8: 682E0B41
	v_add_u32_e32 v24, v66, v5                                 // 0000000045EC: 68300B42
	v_add_u32_e32 v25, v67, v5                                 // 0000000045F0: 68320B43
	v_mul_u32_u24_dpp v64, v16, v63 quad_perm:[0,0,0,0] row_mask:0xf bank_mask:0xf// 0000000045F4: 10807EFA FF000010
	v_add_u32_e32 v2, v64, v59                                 // 0000000045FC: 68047740
	v_mul_u32_u24_dpp v64, v16, v63 quad_perm:[0,0,0,0] row_mask:0xf bank_mask:0xf// 000000004600: 10807EFA FF000010
	v_add_u32_e32 v55, v64, v60                                // 000000004608: 686E7940
	v_mfma_f32_16x16x32_fp8_fp8 v[112:115], a[32:33], v[80:81], 0// 00000000460C: D3F30070 0A02A120
	buffer_load_dwordx4 a[0:3], v22, s[16:19], 0 offen         // 000000004614: E05C1000 80840016
	v_mfma_f32_16x16x32_fp8_fp8 v[112:115], a[34:35], v[82:83], v[112:115]// 00000000461C: D3F30070 0DC2A522
	v_mfma_f32_16x16x32_fp8_fp8 v[112:115], a[36:37], v[84:85], v[112:115]// 000000004624: D3F30070 0DC2A924
	buffer_load_dword v17, v1, s[24:27], 0 offen               // 00000000462C: E0501000 80061101
	v_mfma_f32_16x16x32_fp8_fp8 v[112:115], a[38:39], v[86:87], v[112:115]// 000000004634: D3F30070 0DC2AD26
	v_mfma_f32_16x16x32_fp8_fp8 v[116:119], a[40:41], v[80:81], 0// 00000000463C: D3F30074 0A02A128
	buffer_load_dwordx4 a[4:7], v22, s[16:19], 0 offen offset:1024// 000000004644: E05C1400 80840416
	v_mfma_f32_16x16x32_fp8_fp8 v[116:119], a[42:43], v[82:83], v[116:119]// 00000000464C: D3F30074 0DD2A52A
	v_mfma_f32_16x16x32_fp8_fp8 v[116:119], a[44:45], v[84:85], v[116:119]// 000000004654: D3F30074 0DD2A92C
	v_mfma_f32_16x16x32_fp8_fp8 v[116:119], a[46:47], v[86:87], v[116:119]// 00000000465C: D3F30074 0DD2AD2E
	v_mfma_f32_16x16x32_fp8_fp8 v[120:123], a[48:49], v[80:81], 0// 000000004664: D3F30078 0A02A130
	buffer_load_dwordx4 a[8:11], v23, s[16:19], 0 offen        // 00000000466C: E05C1000 80840817
	v_mfma_f32_16x16x32_fp8_fp8 v[120:123], a[50:51], v[82:83], v[120:123]// 000000004674: D3F30078 0DE2A532
	v_mfma_f32_16x16x32_fp8_fp8 v[120:123], a[52:53], v[84:85], v[120:123]// 00000000467C: D3F30078 0DE2A934
	v_mfma_f32_16x16x32_fp8_fp8 v[120:123], a[54:55], v[86:87], v[120:123]// 000000004684: D3F30078 0DE2AD36
	v_mfma_f32_16x16x32_fp8_fp8 v[124:127], a[56:57], v[80:81], 0// 00000000468C: D3F3007C 0A02A138
	buffer_load_dwordx4 a[12:15], v23, s[16:19], 0 offen offset:1024// 000000004694: E05C1400 80840C17
	v_mfma_f32_16x16x32_fp8_fp8 v[124:127], a[58:59], v[82:83], v[124:127]// 00000000469C: D3F3007C 0DF2A53A
	v_mfma_f32_16x16x32_fp8_fp8 v[124:127], a[60:61], v[84:85], v[124:127]// 0000000046A4: D3F3007C 0DF2A93C
	v_mfma_f32_16x16x32_fp8_fp8 v[124:127], a[62:63], v[86:87], v[124:127]// 0000000046AC: D3F3007C 0DF2AD3E
	buffer_load_dword v42, v2, s[32:35], 0 offen               // 0000000046B4: E0501000 80082A02
	v_mov_b32_dpp v64, v43 row_shr:4 row_mask:0xf bank_mask:0xf// 0000000046BC: 7E8002FA FF01142B
	v_mov_b32_dpp v65, v43 row_shl:4 row_mask:0xf bank_mask:0xf// 0000000046C4: 7E8202FA FF01042B
	v_cndmask_b32_e64 v248, v43, v64, s[44:45]                 // 0000000046CC: D10000F8 00B2812B
	v_cndmask_b32_e64 v249, v65, v43, s[44:45]                 // 0000000046D4: D10000F9 00B25741
	v_mov_b32_dpp v64, v248 row_shr:8 row_mask:0xf bank_mask:0xf// 0000000046DC: 7E8002FA FF0118F8
	v_mov_b32_dpp v65, v248 row_shl:8 row_mask:0xf bank_mask:0xf// 0000000046E4: 7E8202FA FF0108F8
	v_mov_b32_dpp v66, v249 row_shr:8 row_mask:0xf bank_mask:0xf// 0000000046EC: 7E8402FA FF0118F9
	v_mov_b32_dpp v67, v249 row_shl:8 row_mask:0xf bank_mask:0xf// 0000000046F4: 7E8602FA FF0108F9
	v_mov_b32_e32 v68, v248                                    // 0000000046FC: 7E8803F8
	v_mov_b32_e32 v69, v249                                    // 000000004700: 7E8A03F9
	v_cndmask_b32_e64 v248, v68, v64, s[42:43]                 // 000000004704: D10000F8 00AA8144
	v_cndmask_b32_e64 v250, v68, v65, s[78:79]                 // 00000000470C: D10000FA 013A8344
	v_cndmask_b32_e64 v249, v69, v66, s[42:43]                 // 000000004714: D10000F9 00AA8545
	v_cndmask_b32_e64 v251, v69, v67, s[78:79]                 // 00000000471C: D10000FB 013A8745
	v_mov_b32_dpp v64, v58 row_shr:4 row_mask:0xf bank_mask:0xf// 000000004724: 7E8002FA FF01143A
	v_mov_b32_dpp v65, v58 row_shl:4 row_mask:0xf bank_mask:0xf// 00000000472C: 7E8202FA FF01043A
	v_cndmask_b32_e64 v252, v58, v64, s[44:45]                 // 000000004734: D10000FC 00B2813A
	v_cndmask_b32_e64 v253, v65, v58, s[44:45]                 // 00000000473C: D10000FD 00B27541
	v_mov_b32_dpp v64, v252 row_shr:8 row_mask:0xf bank_mask:0xf// 000000004744: 7E8002FA FF0118FC
	v_mov_b32_dpp v65, v252 row_shl:8 row_mask:0xf bank_mask:0xf// 00000000474C: 7E8202FA FF0108FC
	v_mov_b32_dpp v66, v253 row_shr:8 row_mask:0xf bank_mask:0xf// 000000004754: 7E8402FA FF0118FD
	v_mov_b32_dpp v67, v253 row_shl:8 row_mask:0xf bank_mask:0xf// 00000000475C: 7E8602FA FF0108FD
	v_mov_b32_e32 v68, v252                                    // 000000004764: 7E8803FC
	v_mov_b32_e32 v69, v253                                    // 000000004768: 7E8A03FD
	v_cndmask_b32_e64 v252, v68, v64, s[42:43]                 // 00000000476C: D10000FC 00AA8144
	v_cndmask_b32_e64 v254, v68, v65, s[78:79]                 // 000000004774: D10000FE 013A8344
	v_cndmask_b32_e64 v253, v69, v66, s[42:43]                 // 00000000477C: D10000FD 00AA8545
	v_cndmask_b32_e64 v255, v69, v67, s[78:79]                 // 000000004784: D10000FF 013A8745
	buffer_load_dword v57, v55, s[36:39], 0 offen              // 00000000478C: E0501000 80093937
	v_mul_f32_e32 v112, v18, v112                              // 000000004794: 0AE0E112
	v_mul_f32_e32 v113, v18, v113                              // 000000004798: 0AE2E312
	v_mul_f32_e32 v114, v18, v114                              // 00000000479C: 0AE4E512
	v_mul_f32_e32 v115, v18, v115                              // 0000000047A0: 0AE6E712
	v_mul_f32_e32 v116, v18, v116                              // 0000000047A4: 0AE8E912
	v_mul_f32_e32 v117, v18, v117                              // 0000000047A8: 0AEAEB12
	v_mul_f32_e32 v118, v18, v118                              // 0000000047AC: 0AECED12
	v_mul_f32_e32 v119, v18, v119                              // 0000000047B0: 0AEEEF12
	v_mul_f32_e32 v120, v18, v120                              // 0000000047B4: 0AF0F112
	v_mul_f32_e32 v121, v18, v121                              // 0000000047B8: 0AF2F312
	v_mul_f32_e32 v122, v18, v122                              // 0000000047BC: 0AF4F512
	v_mul_f32_e32 v123, v18, v123                              // 0000000047C0: 0AF6F712
	v_mul_f32_e32 v124, v18, v124                              // 0000000047C4: 0AF8F912
	v_mul_f32_e32 v125, v18, v125                              // 0000000047C8: 0AFAFB12
	v_mul_f32_e32 v126, v18, v126                              // 0000000047CC: 0AFCFD12
	v_mul_f32_e32 v127, v18, v127                              // 0000000047D0: 0AFEFF12
	buffer_load_dwordx4 a[16:19], v24, s[16:19], 0 offen       // 0000000047D4: E05C1000 80841018
	v_mul_f32_dpp v112, v248, v112 quad_perm:[0,0,0,0] row_mask:0xf bank_mask:0xf// 0000000047DC: 0AE0E0FA FF0000F8
	v_mul_f32_dpp v113, v248, v113 quad_perm:[1,1,1,1] row_mask:0xf bank_mask:0xf// 0000000047E4: 0AE2E2FA FF0055F8
	v_mul_f32_dpp v114, v248, v114 quad_perm:[2,2,2,2] row_mask:0xf bank_mask:0xf// 0000000047EC: 0AE4E4FA FF00AAF8
	v_mul_f32_dpp v115, v248, v115 quad_perm:[3,3,3,3] row_mask:0xf bank_mask:0xf// 0000000047F4: 0AE6E6FA FF00FFF8
	v_mul_f32_dpp v116, v249, v116 quad_perm:[0,0,0,0] row_mask:0xf bank_mask:0xf// 0000000047FC: 0AE8E8FA FF0000F9
	v_mul_f32_dpp v117, v249, v117 quad_perm:[1,1,1,1] row_mask:0xf bank_mask:0xf// 000000004804: 0AEAEAFA FF0055F9
	v_mul_f32_dpp v118, v249, v118 quad_perm:[2,2,2,2] row_mask:0xf bank_mask:0xf// 00000000480C: 0AECECFA FF00AAF9
	v_mul_f32_dpp v119, v249, v119 quad_perm:[3,3,3,3] row_mask:0xf bank_mask:0xf// 000000004814: 0AEEEEFA FF00FFF9
	v_mul_f32_dpp v120, v250, v120 quad_perm:[0,0,0,0] row_mask:0xf bank_mask:0xf// 00000000481C: 0AF0F0FA FF0000FA
	v_mul_f32_dpp v121, v250, v121 quad_perm:[1,1,1,1] row_mask:0xf bank_mask:0xf// 000000004824: 0AF2F2FA FF0055FA
	v_mul_f32_dpp v122, v250, v122 quad_perm:[2,2,2,2] row_mask:0xf bank_mask:0xf// 00000000482C: 0AF4F4FA FF00AAFA
	v_mul_f32_dpp v123, v250, v123 quad_perm:[3,3,3,3] row_mask:0xf bank_mask:0xf// 000000004834: 0AF6F6FA FF00FFFA
	v_mul_f32_dpp v124, v251, v124 quad_perm:[0,0,0,0] row_mask:0xf bank_mask:0xf// 00000000483C: 0AF8F8FA FF0000FB
	v_mul_f32_dpp v125, v251, v125 quad_perm:[1,1,1,1] row_mask:0xf bank_mask:0xf// 000000004844: 0AFAFAFA FF0055FB
	v_mul_f32_dpp v126, v251, v126 quad_perm:[2,2,2,2] row_mask:0xf bank_mask:0xf// 00000000484C: 0AFCFCFA FF00AAFB
	v_mul_f32_dpp v127, v251, v127 quad_perm:[3,3,3,3] row_mask:0xf bank_mask:0xf// 000000004854: 0AFEFEFA FF00FFFB
	buffer_load_dwordx4 a[20:23], v24, s[16:19], 0 offen offset:1024// 00000000485C: E05C1400 80841418
	v_mov_b32_e32 v48, v112                                    // 000000004864: 7E600370
	v_max3_f32 v48, v112, v113, v48                            // 000000004868: D1D30030 04C2E370
	v_max3_f32 v48, v114, v115, v48                            // 000000004870: D1D30030 04C2E772
	v_max3_f32 v48, v116, v117, v48                            // 000000004878: D1D30030 04C2EB74
	v_max3_f32 v48, v118, v119, v48                            // 000000004880: D1D30030 04C2EF76
	v_max3_f32 v48, v120, v121, v48                            // 000000004888: D1D30030 04C2F378
	v_max3_f32 v48, v122, v123, v48                            // 000000004890: D1D30030 04C2F77A
	v_max3_f32 v48, v124, v125, v48                            // 000000004898: D1D30030 04C2FB7C
	v_max3_f32 v48, v126, v127, v48                            // 0000000048A0: D1D30030 04C2FF7E
	ds_write_b32 v8, v48 offset:16896                          // 0000000048A8: D81A4200 00003008
	buffer_load_dwordx4 a[24:27], v25, s[16:19], 0 offen       // 0000000048B0: E05C1000 80841819
	v_mul_u32_u24_dpp v64, v16, v54 row_newbcast:1 row_mask:0xf bank_mask:0xf// 0000000048B8: 10806CFA FF015110
	v_mul_u32_u24_dpp v65, v16, v54 row_newbcast:5 row_mask:0xf bank_mask:0xf// 0000000048C0: 10826CFA FF015510
	v_mul_u32_u24_dpp v66, v16, v54 row_newbcast:9 row_mask:0xf bank_mask:0xf// 0000000048C8: 10846CFA FF015910
	v_mul_u32_u24_dpp v67, v16, v54 row_newbcast:13 row_mask:0xf bank_mask:0xf// 0000000048D0: 10866CFA FF015D10
	v_add_u32_e32 v30, v64, v6                                 // 0000000048D8: 683C0D40
	v_add_u32_e32 v31, v65, v6                                 // 0000000048DC: 683E0D41
	v_add_u32_e32 v32, v66, v6                                 // 0000000048E0: 68400D42
	v_add_u32_e32 v33, v67, v6                                 // 0000000048E4: 68420D43
	v_mul_f32_e32 v208, v49, v208                              // 0000000048E8: 0BA1A131
	v_mul_f32_e32 v209, v49, v209                              // 0000000048EC: 0BA3A331
	v_mul_f32_e32 v210, v49, v210                              // 0000000048F0: 0BA5A531
	v_mul_f32_e32 v211, v49, v211                              // 0000000048F4: 0BA7A731
	v_mul_f32_e32 v212, v49, v212                              // 0000000048F8: 0BA9A931
	v_mul_f32_e32 v213, v49, v213                              // 0000000048FC: 0BABAB31
	v_mul_f32_e32 v214, v49, v214                              // 000000004900: 0BADAD31
	v_mul_f32_e32 v215, v49, v215                              // 000000004904: 0BAFAF31
	s_waitcnt lgkmcnt(0)                                       // 000000004908: BF8CC07F
	s_barrier                                                  // 00000000490C: BF8A0000
	ds_read_b32 v64, v7 offset:16896                           // 000000004910: D86C4200 40000007
	ds_read_b32 v65, v7 offset:16960                           // 000000004918: D86C4240 41000007
	ds_read_b32 v66, v7 offset:17024                           // 000000004920: D86C4280 42000007
	ds_read_b32 v67, v7 offset:17088                           // 000000004928: D86C42C0 43000007
	ds_read_b32 v68, v7 offset:17152                           // 000000004930: D86C4300 44000007
	ds_read_b32 v69, v7 offset:17216                           // 000000004938: D86C4340 45000007
	ds_read_b32 v70, v7 offset:17280                           // 000000004940: D86C4380 46000007
	ds_read_b32 v71, v7 offset:17344                           // 000000004948: D86C43C0 47000007
	ds_read_b32 v72, v7 offset:17408                           // 000000004950: D86C4400 48000007
	ds_read_b32 v73, v7 offset:17472                           // 000000004958: D86C4440 49000007
	ds_read_b32 v74, v7 offset:17536                           // 000000004960: D86C4480 4A000007
	ds_read_b32 v75, v7 offset:17600                           // 000000004968: D86C44C0 4B000007
	ds_read_b32 v76, v7 offset:17664                           // 000000004970: D86C4500 4C000007
	ds_read_b32 v77, v7 offset:17728                           // 000000004978: D86C4540 4D000007
	ds_read_b32 v78, v7 offset:17792                           // 000000004980: D86C4580 4E000007
	ds_read_b32 v79, v7 offset:17856                           // 000000004988: D86C45C0 4F000007
	buffer_load_dwordx4 a[28:31], v25, s[16:19], 0 offen offset:1024// 000000004990: E05C1400 80841C19
	v_mul_f32_e32 v176, v44, v176                              // 000000004998: 0B61612C
	v_mul_f32_e32 v177, v44, v177                              // 00000000499C: 0B63632C
	v_mul_f32_e32 v178, v44, v178                              // 0000000049A0: 0B65652C
	v_mul_f32_e32 v179, v44, v179                              // 0000000049A4: 0B67672C
	v_mul_f32_e32 v180, v44, v180                              // 0000000049A8: 0B69692C
	v_mul_f32_e32 v181, v44, v181                              // 0000000049AC: 0B6B6B2C
	v_mul_f32_e32 v182, v44, v182                              // 0000000049B0: 0B6D6D2C
	v_mul_f32_e32 v183, v44, v183                              // 0000000049B4: 0B6F6F2C
	s_waitcnt lgkmcnt(0)                                       // 0000000049B8: BF8CC07F
	v_max3_f32 v48, v64, v65, v48                              // 0000000049BC: D1D30030 04C28340
	v_max3_f32 v48, v66, v67, v48                              // 0000000049C4: D1D30030 04C28742
	v_max3_f32 v48, v68, v69, v48                              // 0000000049CC: D1D30030 04C28B44
	v_max3_f32 v48, v70, v71, v48                              // 0000000049D4: D1D30030 04C28F46
	v_max3_f32 v48, v72, v73, v48                              // 0000000049DC: D1D30030 04C29348
	v_max3_f32 v48, v74, v75, v48                              // 0000000049E4: D1D30030 04C2974A
	v_max3_f32 v48, v76, v77, v48                              // 0000000049EC: D1D30030 04C29B4C
	v_max3_f32 v48, v78, v79, v48                              // 0000000049F4: D1D30030 04C29F4E
	buffer_load_dwordx4 a[64:67], v30, s[20:23], 0 offen       // 0000000049FC: E05C1000 8085401E
	v_mov_b32_e32 v64, 0xff800000                              // 000000004A04: 7E8002FF FF800000
	v_cmp_eq_u32_e64 s[40:41], v64, v11                        // 000000004A0C: D0CA0028 00021740
	s_nop 1                                                    // 000000004A14: BF800001
	v_max_f32_e32 v15, v48, v11                                // 000000004A18: 161E1730
	v_mul_f32_e32 v53, s64, v15                                // 000000004A1C: 0A6A1E40
	v_fma_f32 v112, v112, s64, -v53                            // 000000004A20: D1CB0070 84D48170
	v_fma_f32 v113, v113, s64, -v53                            // 000000004A28: D1CB0071 84D48171
	v_fma_f32 v114, v114, s64, -v53                            // 000000004A30: D1CB0072 84D48172
	v_fma_f32 v115, v115, s64, -v53                            // 000000004A38: D1CB0073 84D48173
	v_fma_f32 v116, v116, s64, -v53                            // 000000004A40: D1CB0074 84D48174
	v_fma_f32 v117, v117, s64, -v53                            // 000000004A48: D1CB0075 84D48175
	v_fma_f32 v118, v118, s64, -v53                            // 000000004A50: D1CB0076 84D48176
	v_fma_f32 v119, v119, s64, -v53                            // 000000004A58: D1CB0077 84D48177
	v_fma_f32 v120, v120, s64, -v53                            // 000000004A60: D1CB0078 84D48178
	v_fma_f32 v121, v121, s64, -v53                            // 000000004A68: D1CB0079 84D48179
	v_fma_f32 v122, v122, s64, -v53                            // 000000004A70: D1CB007A 84D4817A
	v_fma_f32 v123, v123, s64, -v53                            // 000000004A78: D1CB007B 84D4817B
	v_fma_f32 v124, v124, s64, -v53                            // 000000004A80: D1CB007C 84D4817C
	v_fma_f32 v125, v125, s64, -v53                            // 000000004A88: D1CB007D 84D4817D
	v_fma_f32 v126, v126, s64, -v53                            // 000000004A90: D1CB007E 84D4817E
	v_fma_f32 v127, v127, s64, -v53                            // 000000004A98: D1CB007F 84D4817F
	buffer_load_dwordx4 a[68:71], v31, s[20:23], 0 offen       // 000000004AA0: E05C1000 8085441F
	v_exp_f32_e32 v112, v112                                   // 000000004AA8: 7EE04170
	v_exp_f32_e32 v113, v113                                   // 000000004AAC: 7EE24171
	v_exp_f32_e32 v114, v114                                   // 000000004AB0: 7EE44172
	v_exp_f32_e32 v115, v115                                   // 000000004AB4: 7EE64173
	v_exp_f32_e32 v116, v116                                   // 000000004AB8: 7EE84174
	v_exp_f32_e32 v117, v117                                   // 000000004ABC: 7EEA4175
	v_exp_f32_e32 v118, v118                                   // 000000004AC0: 7EEC4176
	v_exp_f32_e32 v119, v119                                   // 000000004AC4: 7EEE4177
	v_exp_f32_e32 v120, v120                                   // 000000004AC8: 7EF04178
	v_exp_f32_e32 v121, v121                                   // 000000004ACC: 7EF24179
	v_exp_f32_e32 v122, v122                                   // 000000004AD0: 7EF4417A
	v_exp_f32_e32 v123, v123                                   // 000000004AD4: 7EF6417B
	v_exp_f32_e32 v124, v124                                   // 000000004AD8: 7EF8417C
	v_exp_f32_e32 v125, v125                                   // 000000004ADC: 7EFA417D
	v_exp_f32_e32 v126, v126                                   // 000000004AE0: 7EFC417E
	v_exp_f32_e32 v127, v127                                   // 000000004AE4: 7EFE417F
	buffer_load_dwordx4 a[72:75], v32, s[20:23], 0 offen       // 000000004AE8: E05C1000 80854820
	v_mul_f32_dpp v240, v252, v112 quad_perm:[0,0,0,0] row_mask:0xf bank_mask:0xf// 000000004AF0: 0BE0E0FA FF0000FC
	v_mul_f32_dpp v241, v252, v113 quad_perm:[1,1,1,1] row_mask:0xf bank_mask:0xf// 000000004AF8: 0BE2E2FA FF0055FC
	v_mul_f32_dpp v242, v252, v114 quad_perm:[2,2,2,2] row_mask:0xf bank_mask:0xf// 000000004B00: 0BE4E4FA FF00AAFC
	v_mul_f32_dpp v243, v252, v115 quad_perm:[3,3,3,3] row_mask:0xf bank_mask:0xf// 000000004B08: 0BE6E6FA FF00FFFC
	v_mul_f32_dpp v244, v253, v116 quad_perm:[0,0,0,0] row_mask:0xf bank_mask:0xf// 000000004B10: 0BE8E8FA FF0000FD
	v_mul_f32_dpp v245, v253, v117 quad_perm:[1,1,1,1] row_mask:0xf bank_mask:0xf// 000000004B18: 0BEAEAFA FF0055FD
	v_mul_f32_dpp v246, v253, v118 quad_perm:[2,2,2,2] row_mask:0xf bank_mask:0xf// 000000004B20: 0BECECFA FF00AAFD
	v_mul_f32_dpp v247, v253, v119 quad_perm:[3,3,3,3] row_mask:0xf bank_mask:0xf// 000000004B28: 0BEEEEFA FF00FFFD
	v_mul_f32_dpp v248, v254, v120 quad_perm:[0,0,0,0] row_mask:0xf bank_mask:0xf// 000000004B30: 0BF0F0FA FF0000FE
	v_mul_f32_dpp v249, v254, v121 quad_perm:[1,1,1,1] row_mask:0xf bank_mask:0xf// 000000004B38: 0BF2F2FA FF0055FE
	v_mul_f32_dpp v250, v254, v122 quad_perm:[2,2,2,2] row_mask:0xf bank_mask:0xf// 000000004B40: 0BF4F4FA FF00AAFE
	v_mul_f32_dpp v251, v254, v123 quad_perm:[3,3,3,3] row_mask:0xf bank_mask:0xf// 000000004B48: 0BF6F6FA FF00FFFE
	v_mul_f32_dpp v252, v255, v124 quad_perm:[0,0,0,0] row_mask:0xf bank_mask:0xf// 000000004B50: 0BF8F8FA FF0000FF
	v_mul_f32_dpp v253, v255, v125 quad_perm:[1,1,1,1] row_mask:0xf bank_mask:0xf// 000000004B58: 0BFAFAFA FF0055FF
	v_mul_f32_dpp v254, v255, v126 quad_perm:[2,2,2,2] row_mask:0xf bank_mask:0xf// 000000004B60: 0BFCFCFA FF00AAFF
	v_mul_f32_dpp v255, v255, v127 quad_perm:[3,3,3,3] row_mask:0xf bank_mask:0xf// 000000004B68: 0BFEFEFA FF00FFFF
	v_mov_b32_e32 v48, 0x358637bd                              // 000000004B70: 7E6002FF 358637BD
	v_max3_f32 v48, |v240|, |v241|, v48                        // 000000004B78: D1D30330 04C3E3F0
	v_max3_f32 v48, |v242|, |v243|, v48                        // 000000004B80: D1D30330 04C3E7F2
	v_max3_f32 v48, |v244|, |v245|, v48                        // 000000004B88: D1D30330 04C3EBF4
	v_max3_f32 v48, |v246|, |v247|, v48                        // 000000004B90: D1D30330 04C3EFF6
	v_max3_f32 v48, |v248|, |v249|, v48                        // 000000004B98: D1D30330 04C3F3F8
	v_max3_f32 v48, |v250|, |v251|, v48                        // 000000004BA0: D1D30330 04C3F7FA
	v_max3_f32 v48, |v252|, |v253|, v48                        // 000000004BA8: D1D30330 04C3FBFC
	v_max3_f32 v48, |v254|, |v255|, v48                        // 000000004BB0: D1D30330 04C3FFFE
	buffer_load_dwordx4 a[76:79], v33, s[20:23], 0 offen       // 000000004BB8: E05C1000 80854C21
	ds_write_b32 v8, v48 offset:20992                          // 000000004BC0: D81A5200 00003008
	v_sub_f32_e32 v49, v11, v15                                // 000000004BC8: 04621F0B
	v_cndmask_b32_e64 v49, v49, 0, s[40:41]                    // 000000004BCC: D1000031 00A10131
	v_mov_b32_e32 v11, v15                                     // 000000004BD4: 7E16030F
	v_mul_f32_e32 v49, s64, v49                                // 000000004BD8: 0A626240
	v_exp_f32_e32 v49, v49                                     // 000000004BDC: 7E624131
	s_waitcnt lgkmcnt(0)                                       // 000000004BE0: BF8CC07F
	s_barrier                                                  // 000000004BE4: BF8A0000
	ds_read_b32 v64, v7 offset:20992                           // 000000004BE8: D86C5200 40000007
	ds_read_b32 v65, v7 offset:21056                           // 000000004BF0: D86C5240 41000007
	ds_read_b32 v66, v7 offset:21120                           // 000000004BF8: D86C5280 42000007
	ds_read_b32 v67, v7 offset:21184                           // 000000004C00: D86C52C0 43000007
	ds_read_b32 v68, v7 offset:21248                           // 000000004C08: D86C5300 44000007
	ds_read_b32 v69, v7 offset:21312                           // 000000004C10: D86C5340 45000007
	ds_read_b32 v70, v7 offset:21376                           // 000000004C18: D86C5380 46000007
	ds_read_b32 v71, v7 offset:21440                           // 000000004C20: D86C53C0 47000007
	ds_read_b32 v72, v7 offset:21504                           // 000000004C28: D86C5400 48000007
	ds_read_b32 v73, v7 offset:21568                           // 000000004C30: D86C5440 49000007
	ds_read_b32 v74, v7 offset:21632                           // 000000004C38: D86C5480 4A000007
	ds_read_b32 v75, v7 offset:21696                           // 000000004C40: D86C54C0 4B000007
	ds_read_b32 v76, v7 offset:21760                           // 000000004C48: D86C5500 4C000007
	ds_read_b32 v77, v7 offset:21824                           // 000000004C50: D86C5540 4D000007
	ds_read_b32 v78, v7 offset:21888                           // 000000004C58: D86C5580 4E000007
	ds_read_b32 v79, v7 offset:21952                           // 000000004C60: D86C55C0 4F000007
	v_mul_f32_e32 v38, v49, v38                                // 000000004C68: 0A4C4D31
	v_mov_b32_e32 v15, v112                                    // 000000004C6C: 7E1E0370
	v_add_f32_e32 v15, v113, v15                               // 000000004C70: 021E1F71
	v_add_f32_e32 v15, v114, v15                               // 000000004C74: 021E1F72
	v_add_f32_e32 v15, v115, v15                               // 000000004C78: 021E1F73
	v_add_f32_e32 v15, v116, v15                               // 000000004C7C: 021E1F74
	v_add_f32_e32 v15, v117, v15                               // 000000004C80: 021E1F75
	v_add_f32_e32 v15, v118, v15                               // 000000004C84: 021E1F76
	v_add_f32_e32 v15, v119, v15                               // 000000004C88: 021E1F77
	v_add_f32_e32 v15, v120, v15                               // 000000004C8C: 021E1F78
	v_add_f32_e32 v15, v121, v15                               // 000000004C90: 021E1F79
	v_add_f32_e32 v15, v122, v15                               // 000000004C94: 021E1F7A
	v_add_f32_e32 v15, v123, v15                               // 000000004C98: 021E1F7B
	v_add_f32_e32 v15, v124, v15                               // 000000004C9C: 021E1F7C
	v_add_f32_e32 v15, v125, v15                               // 000000004CA0: 021E1F7D
	v_add_f32_e32 v15, v126, v15                               // 000000004CA4: 021E1F7E
	v_add_f32_e32 v15, v127, v15                               // 000000004CA8: 021E1F7F
	v_add_f32_e32 v38, v15, v38                                // 000000004CAC: 024C4D0F
	s_waitcnt lgkmcnt(0)                                       // 000000004CB0: BF8CC07F
	v_max3_f32 v48, |v64|, |v65|, v48                          // 000000004CB4: D1D30330 04C28340
	v_max3_f32 v48, |v66|, |v67|, v48                          // 000000004CBC: D1D30330 04C28742
	v_max3_f32 v48, |v68|, |v69|, v48                          // 000000004CC4: D1D30330 04C28B44
	v_max3_f32 v48, |v70|, |v71|, v48                          // 000000004CCC: D1D30330 04C28F46
	v_max3_f32 v48, |v72|, |v73|, v48                          // 000000004CD4: D1D30330 04C29348
	v_max3_f32 v48, |v74|, |v75|, v48                          // 000000004CDC: D1D30330 04C2974A
	v_max3_f32 v48, |v76|, |v77|, v48                          // 000000004CE4: D1D30330 04C29B4C
	v_max3_f32 v48, |v78|, |v79|, v48                          // 000000004CEC: D1D30330 04C29F4E
	s_nop 2                                                    // 000000004CF4: BF800002
	v_rcp_f32_e32 v48, v48                                     // 000000004CF8: 7E604530
	s_nop 1                                                    // 000000004CFC: BF800001
	v_mul_f32_e32 v48, 0x43e00000, v48                         // 000000004D00: 0A6060FF 43E00000
	v_mul_f32_e32 v112, v48, v240                              // 000000004D08: 0AE1E130
	v_mul_f32_e32 v113, v48, v241                              // 000000004D0C: 0AE3E330
	v_mul_f32_e32 v114, v48, v242                              // 000000004D10: 0AE5E530
	v_mul_f32_e32 v115, v48, v243                              // 000000004D14: 0AE7E730
	v_mul_f32_e32 v116, v48, v244                              // 000000004D18: 0AE9E930
	v_mul_f32_e32 v117, v48, v245                              // 000000004D1C: 0AEBEB30
	v_mul_f32_e32 v118, v48, v246                              // 000000004D20: 0AEDED30
	v_mul_f32_e32 v119, v48, v247                              // 000000004D24: 0AEFEF30
	v_mul_f32_e32 v120, v48, v248                              // 000000004D28: 0AF1F130
	v_mul_f32_e32 v121, v48, v249                              // 000000004D2C: 0AF3F330
	v_mul_f32_e32 v122, v48, v250                              // 000000004D30: 0AF5F530
	v_mul_f32_e32 v123, v48, v251                              // 000000004D34: 0AF7F730
	v_mul_f32_e32 v124, v48, v252                              // 000000004D38: 0AF9F930
	v_mul_f32_e32 v125, v48, v253                              // 000000004D3C: 0AFBFB30
	v_mul_f32_e32 v126, v48, v254                              // 000000004D40: 0AFDFD30
	v_mul_f32_e32 v127, v48, v255                              // 000000004D44: 0AFFFF30
	v_cvt_pk_fp8_f32 v112, v112, v113                          // 000000004D48: D2A20070 0002E370
	v_cvt_pk_fp8_f32 v112, v114, v115 op_sel:[0,0,1]           // 000000004D50: D2A24070 0002E772
	v_cvt_pk_fp8_f32 v113, v116, v117                          // 000000004D58: D2A20071 0002EB74
	v_cvt_pk_fp8_f32 v113, v118, v119 op_sel:[0,0,1]           // 000000004D60: D2A24071 0002EF76
	v_cvt_pk_fp8_f32 v114, v120, v121                          // 000000004D68: D2A20072 0002F378
	v_cvt_pk_fp8_f32 v114, v122, v123 op_sel:[0,0,1]           // 000000004D70: D2A24072 0002F77A
	v_cvt_pk_fp8_f32 v115, v124, v125                          // 000000004D78: D2A20073 0002FB7C
	v_cvt_pk_fp8_f32 v115, v126, v127 op_sel:[0,0,1]           // 000000004D80: D2A24073 0002FF7E
	ds_write_b32 v10, v112 offset:25088                        // 000000004D88: D81A6200 0000700A
	ds_write_b32 v10, v113 offset:26112                        // 000000004D90: D81A6600 0000710A
	ds_write_b32 v10, v114 offset:27136                        // 000000004D98: D81A6A00 0000720A
	ds_write_b32 v10, v115 offset:28160                        // 000000004DA0: D81A6E00 0000730A
	v_add_f32_e32 v208, v208, v176                             // 000000004DA8: 03A161D0
	v_add_f32_e32 v209, v209, v177                             // 000000004DAC: 03A363D1
	v_add_f32_e32 v210, v210, v178                             // 000000004DB0: 03A565D2
	v_add_f32_e32 v211, v211, v179                             // 000000004DB4: 03A767D3
	v_add_f32_e32 v212, v212, v180                             // 000000004DB8: 03A969D4
	v_add_f32_e32 v213, v213, v181                             // 000000004DBC: 03AB6BD5
	v_add_f32_e32 v214, v214, v182                             // 000000004DC0: 03AD6DD6
	v_add_f32_e32 v215, v215, v183                             // 000000004DC4: 03AF6FD7
	v_rcp_f32_e32 v44, v48                                     // 000000004DC8: 7E584530
	s_waitcnt lgkmcnt(0)                                       // 000000004DCC: BF8CC07F
	s_barrier                                                  // 000000004DD0: BF8A0000
	ds_read_b64 v[112:113], v9 offset:25088                    // 000000004DD4: D8EC6200 70000009
	ds_read_b64 v[114:115], v9 offset:25216                    // 000000004DDC: D8EC6280 72000009
	ds_read_b64 v[116:117], v9 offset:26112                    // 000000004DE4: D8EC6600 74000009
	ds_read_b64 v[118:119], v9 offset:26240                    // 000000004DEC: D8EC6680 76000009
	ds_read_b64 v[120:121], v9 offset:27136                    // 000000004DF4: D8EC6A00 78000009
	ds_read_b64 v[122:123], v9 offset:27264                    // 000000004DFC: D8EC6A80 7A000009
	ds_read_b64 v[124:125], v9 offset:28160                    // 000000004E04: D8EC6E00 7C000009
	ds_read_b64 v[126:127], v9 offset:28288                    // 000000004E0C: D8EC6E80 7E000009
	s_waitcnt vmcnt(15)                                        // 000000004E14: BF8C0F7F
	s_waitcnt lgkmcnt(7)                                       // 000000004E18: BF8CC77F
	v_mfma_f32_16x16x32_fp8_fp8 v[176:179], a[96:97], v[112:113], 0// 000000004E1C: D3F300B0 0A02E160
	buffer_load_dwordx4 a[80:83], v30, s[20:23], 0 offen offset:1024// 000000004E24: E05C1400 8085501E
	s_waitcnt lgkmcnt(6)                                       // 000000004E2C: BF8CC67F
	v_mfma_f32_16x16x32_fp8_fp8 v[176:179], a[98:99], v[114:115], v[176:179]// 000000004E30: D3F300B0 0EC2E562
	s_waitcnt lgkmcnt(5)                                       // 000000004E38: BF8CC57F
	v_mfma_f32_16x16x32_fp8_fp8 v[176:179], a[100:101], v[116:117], v[176:179]// 000000004E3C: D3F300B0 0EC2E964
	s_waitcnt lgkmcnt(4)                                       // 000000004E44: BF8CC47F
	v_mfma_f32_16x16x32_fp8_fp8 v[176:179], a[102:103], v[118:119], v[176:179]// 000000004E48: D3F300B0 0EC2ED66
	s_waitcnt lgkmcnt(3)                                       // 000000004E50: BF8CC37F
	v_mfma_f32_16x16x32_fp8_fp8 v[176:179], a[104:105], v[120:121], v[176:179]// 000000004E54: D3F300B0 0EC2F168
	buffer_load_dwordx4 a[84:87], v31, s[20:23], 0 offen offset:1024// 000000004E5C: E05C1400 8085541F
	s_waitcnt lgkmcnt(2)                                       // 000000004E64: BF8CC27F
	v_mfma_f32_16x16x32_fp8_fp8 v[176:179], a[106:107], v[122:123], v[176:179]// 000000004E68: D3F300B0 0EC2F56A
	s_waitcnt lgkmcnt(1)                                       // 000000004E70: BF8CC17F
	v_mfma_f32_16x16x32_fp8_fp8 v[176:179], a[108:109], v[124:125], v[176:179]// 000000004E74: D3F300B0 0EC2F96C
	s_waitcnt lgkmcnt(0)                                       // 000000004E7C: BF8CC07F
	v_mfma_f32_16x16x32_fp8_fp8 v[176:179], a[110:111], v[126:127], v[176:179]// 000000004E80: D3F300B0 0EC2FD6E
	v_mfma_f32_16x16x32_fp8_fp8 v[180:183], a[112:113], v[112:113], 0// 000000004E88: D3F300B4 0A02E170
	buffer_load_dwordx4 a[88:91], v32, s[20:23], 0 offen offset:1024// 000000004E90: E05C1400 80855820
	v_mfma_f32_16x16x32_fp8_fp8 v[180:183], a[114:115], v[114:115], v[180:183]// 000000004E98: D3F300B4 0ED2E572
	v_mfma_f32_16x16x32_fp8_fp8 v[180:183], a[116:117], v[116:117], v[180:183]// 000000004EA0: D3F300B4 0ED2E974
	v_mfma_f32_16x16x32_fp8_fp8 v[180:183], a[118:119], v[118:119], v[180:183]// 000000004EA8: D3F300B4 0ED2ED76
	v_mfma_f32_16x16x32_fp8_fp8 v[180:183], a[120:121], v[120:121], v[180:183]// 000000004EB0: D3F300B4 0ED2F178
	buffer_load_dwordx4 a[92:95], v33, s[20:23], 0 offen offset:1024// 000000004EB8: E05C1400 80855C21
	v_mfma_f32_16x16x32_fp8_fp8 v[180:183], a[122:123], v[122:123], v[180:183]// 000000004EC0: D3F300B4 0ED2F57A
	v_mfma_f32_16x16x32_fp8_fp8 v[180:183], a[124:125], v[124:125], v[180:183]// 000000004EC8: D3F300B4 0ED2F97C
	s_lshr_b32 s57, s70, 4                                     // 000000004ED0: 8F398446
	s_add_u32 s57, 48, s57                                     // 000000004ED4: 803939B0
	v_mfma_f32_16x16x32_fp8_fp8 v[180:183], a[126:127], v[126:127], v[180:183]// 000000004ED8: D3F300B4 0ED2FD7E
	s_cmp_ge_u32 s57, s73                                      // 000000004EE0: BF094939
	s_cselect_b32 s56, 0, s56                                  // 000000004EE4: 85383880
	v_add_u32_e32 v1, s56, v1                                  // 000000004EE8: 68020238
	s_addk_i32 s70, 0x100                                      // 000000004EEC: B7460100
	s_cmp_lt_i32 s70, s71                                      // 000000004EF0: BF044746
	s_cbranch_scc0 label_069F                                  // 000000004EF4: BF84FB61
	s_branch label_06A2                                        // 000000004EF8: BF82FB63

0000000000004efc <label_0B3F>:
	s_lshr_b32 s60, s71, 4                                     // 000000004EFC: 8F3C8447
	s_cmp_eq_i32 s60, s73                                      // 000000004F00: BF00493C
	s_cbranch_scc1 label_1042                                  // 000000004F04: BF850500
	s_lshr_b32 s60, s71, 8                                     // 000000004F08: 8F3C8847
	s_and_b32 s60, s60, 1                                      // 000000004F0C: 863C813C
	s_cmp_eq_i32 s60, 1                                        // 000000004F10: BF00813C
	s_cbranch_scc1 label_0DC4                                  // 000000004F14: BF85027E
	s_waitcnt vmcnt(8) lgkmcnt(0)                              // 000000004F18: BF8C0078
	s_barrier                                                  // 000000004F1C: BF8A0000
	v_mfma_f32_16x16x32_fp8_fp8 v[112:115], a[0:1], v[80:81], 0// 000000004F20: D3F30070 0A02A100
	v_mfma_f32_16x16x32_fp8_fp8 v[112:115], a[2:3], v[82:83], v[112:115]// 000000004F28: D3F30070 0DC2A502
	v_mfma_f32_16x16x32_fp8_fp8 v[112:115], a[4:5], v[84:85], v[112:115]// 000000004F30: D3F30070 0DC2A904
	v_mfma_f32_16x16x32_fp8_fp8 v[112:115], a[6:7], v[86:87], v[112:115]// 000000004F38: D3F30070 0DC2AD06
	v_mfma_f32_16x16x32_fp8_fp8 v[116:119], a[8:9], v[80:81], 0// 000000004F40: D3F30074 0A02A108
	v_mfma_f32_16x16x32_fp8_fp8 v[116:119], a[10:11], v[82:83], v[116:119]// 000000004F48: D3F30074 0DD2A50A
	v_mfma_f32_16x16x32_fp8_fp8 v[116:119], a[12:13], v[84:85], v[116:119]// 000000004F50: D3F30074 0DD2A90C
	v_mfma_f32_16x16x32_fp8_fp8 v[116:119], a[14:15], v[86:87], v[116:119]// 000000004F58: D3F30074 0DD2AD0E
	v_mfma_f32_16x16x32_fp8_fp8 v[120:123], a[16:17], v[80:81], 0// 000000004F60: D3F30078 0A02A110
	v_mfma_f32_16x16x32_fp8_fp8 v[120:123], a[18:19], v[82:83], v[120:123]// 000000004F68: D3F30078 0DE2A512
	v_mfma_f32_16x16x32_fp8_fp8 v[120:123], a[20:21], v[84:85], v[120:123]// 000000004F70: D3F30078 0DE2A914
	v_mfma_f32_16x16x32_fp8_fp8 v[120:123], a[22:23], v[86:87], v[120:123]// 000000004F78: D3F30078 0DE2AD16
	v_mfma_f32_16x16x32_fp8_fp8 v[124:127], a[24:25], v[80:81], 0// 000000004F80: D3F3007C 0A02A118
	v_mfma_f32_16x16x32_fp8_fp8 v[124:127], a[26:27], v[82:83], v[124:127]// 000000004F88: D3F3007C 0DF2A51A
	v_mfma_f32_16x16x32_fp8_fp8 v[124:127], a[28:29], v[84:85], v[124:127]// 000000004F90: D3F3007C 0DF2A91C
	v_mfma_f32_16x16x32_fp8_fp8 v[124:127], a[30:31], v[86:87], v[124:127]// 000000004F98: D3F3007C 0DF2AD1E
	v_mov_b32_dpp v64, v42 row_shr:4 row_mask:0xf bank_mask:0xf// 000000004FA0: 7E8002FA FF01142A
	v_mov_b32_dpp v65, v42 row_shl:4 row_mask:0xf bank_mask:0xf// 000000004FA8: 7E8202FA FF01042A
	v_cndmask_b32_e64 v248, v42, v64, s[44:45]                 // 000000004FB0: D10000F8 00B2812A
	v_cndmask_b32_e64 v249, v65, v42, s[44:45]                 // 000000004FB8: D10000F9 00B25541
	v_mov_b32_dpp v64, v248 row_shr:8 row_mask:0xf bank_mask:0xf// 000000004FC0: 7E8002FA FF0118F8
	v_mov_b32_dpp v65, v248 row_shl:8 row_mask:0xf bank_mask:0xf// 000000004FC8: 7E8202FA FF0108F8
	v_mov_b32_dpp v66, v249 row_shr:8 row_mask:0xf bank_mask:0xf// 000000004FD0: 7E8402FA FF0118F9
	v_mov_b32_dpp v67, v249 row_shl:8 row_mask:0xf bank_mask:0xf// 000000004FD8: 7E8602FA FF0108F9
	v_mov_b32_e32 v68, v248                                    // 000000004FE0: 7E8803F8
	v_mov_b32_e32 v69, v249                                    // 000000004FE4: 7E8A03F9
	v_cndmask_b32_e64 v248, v68, v64, s[42:43]                 // 000000004FE8: D10000F8 00AA8144
	v_cndmask_b32_e64 v250, v68, v65, s[78:79]                 // 000000004FF0: D10000FA 013A8344
	v_cndmask_b32_e64 v249, v69, v66, s[42:43]                 // 000000004FF8: D10000F9 00AA8545
	v_cndmask_b32_e64 v251, v69, v67, s[78:79]                 // 000000005000: D10000FB 013A8745
	v_mov_b32_dpp v64, v57 row_shr:4 row_mask:0xf bank_mask:0xf// 000000005008: 7E8002FA FF011439
	v_mov_b32_dpp v65, v57 row_shl:4 row_mask:0xf bank_mask:0xf// 000000005010: 7E8202FA FF010439
	v_cndmask_b32_e64 v252, v57, v64, s[44:45]                 // 000000005018: D10000FC 00B28139
	v_cndmask_b32_e64 v253, v65, v57, s[44:45]                 // 000000005020: D10000FD 00B27341
	v_mov_b32_dpp v64, v252 row_shr:8 row_mask:0xf bank_mask:0xf// 000000005028: 7E8002FA FF0118FC
	v_mov_b32_dpp v65, v252 row_shl:8 row_mask:0xf bank_mask:0xf// 000000005030: 7E8202FA FF0108FC
	v_mov_b32_dpp v66, v253 row_shr:8 row_mask:0xf bank_mask:0xf// 000000005038: 7E8402FA FF0118FD
	v_mov_b32_dpp v67, v253 row_shl:8 row_mask:0xf bank_mask:0xf// 000000005040: 7E8602FA FF0108FD
	v_mov_b32_e32 v68, v252                                    // 000000005048: 7E8803FC
	v_mov_b32_e32 v69, v253                                    // 00000000504C: 7E8A03FD
	v_cndmask_b32_e64 v252, v68, v64, s[42:43]                 // 000000005050: D10000FC 00AA8144
	v_cndmask_b32_e64 v254, v68, v65, s[78:79]                 // 000000005058: D10000FE 013A8344
	v_cndmask_b32_e64 v253, v69, v66, s[42:43]                 // 000000005060: D10000FD 00AA8545
	v_cndmask_b32_e64 v255, v69, v67, s[78:79]                 // 000000005068: D10000FF 013A8745
	v_mul_f32_e32 v112, v18, v112                              // 000000005070: 0AE0E112
	v_mul_f32_e32 v113, v18, v113                              // 000000005074: 0AE2E312
	v_mul_f32_e32 v114, v18, v114                              // 000000005078: 0AE4E512
	v_mul_f32_e32 v115, v18, v115                              // 00000000507C: 0AE6E712
	v_mul_f32_e32 v116, v18, v116                              // 000000005080: 0AE8E912
	v_mul_f32_e32 v117, v18, v117                              // 000000005084: 0AEAEB12
	v_mul_f32_e32 v118, v18, v118                              // 000000005088: 0AECED12
	v_mul_f32_e32 v119, v18, v119                              // 00000000508C: 0AEEEF12
	v_mul_f32_e32 v120, v18, v120                              // 000000005090: 0AF0F112
	v_mul_f32_e32 v121, v18, v121                              // 000000005094: 0AF2F312
	v_mul_f32_e32 v122, v18, v122                              // 000000005098: 0AF4F512
	v_mul_f32_e32 v123, v18, v123                              // 00000000509C: 0AF6F712
	v_mul_f32_e32 v124, v18, v124                              // 0000000050A0: 0AF8F912
	v_mul_f32_e32 v125, v18, v125                              // 0000000050A4: 0AFAFB12
	v_mul_f32_e32 v126, v18, v126                              // 0000000050A8: 0AFCFD12
	v_mul_f32_e32 v127, v18, v127                              // 0000000050AC: 0AFEFF12
	v_mul_f32_dpp v112, v248, v112 quad_perm:[0,0,0,0] row_mask:0xf bank_mask:0xf// 0000000050B0: 0AE0E0FA FF0000F8
	v_mul_f32_dpp v113, v248, v113 quad_perm:[1,1,1,1] row_mask:0xf bank_mask:0xf// 0000000050B8: 0AE2E2FA FF0055F8
	v_mul_f32_dpp v114, v248, v114 quad_perm:[2,2,2,2] row_mask:0xf bank_mask:0xf// 0000000050C0: 0AE4E4FA FF00AAF8
	v_mul_f32_dpp v115, v248, v115 quad_perm:[3,3,3,3] row_mask:0xf bank_mask:0xf// 0000000050C8: 0AE6E6FA FF00FFF8
	v_mul_f32_dpp v116, v249, v116 quad_perm:[0,0,0,0] row_mask:0xf bank_mask:0xf// 0000000050D0: 0AE8E8FA FF0000F9
	v_mul_f32_dpp v117, v249, v117 quad_perm:[1,1,1,1] row_mask:0xf bank_mask:0xf// 0000000050D8: 0AEAEAFA FF0055F9
	v_mul_f32_dpp v118, v249, v118 quad_perm:[2,2,2,2] row_mask:0xf bank_mask:0xf// 0000000050E0: 0AECECFA FF00AAF9
	v_mul_f32_dpp v119, v249, v119 quad_perm:[3,3,3,3] row_mask:0xf bank_mask:0xf// 0000000050E8: 0AEEEEFA FF00FFF9
	v_mul_f32_dpp v120, v250, v120 quad_perm:[0,0,0,0] row_mask:0xf bank_mask:0xf// 0000000050F0: 0AF0F0FA FF0000FA
	v_mul_f32_dpp v121, v250, v121 quad_perm:[1,1,1,1] row_mask:0xf bank_mask:0xf// 0000000050F8: 0AF2F2FA FF0055FA
	v_mul_f32_dpp v122, v250, v122 quad_perm:[2,2,2,2] row_mask:0xf bank_mask:0xf// 000000005100: 0AF4F4FA FF00AAFA
	v_mul_f32_dpp v123, v250, v123 quad_perm:[3,3,3,3] row_mask:0xf bank_mask:0xf// 000000005108: 0AF6F6FA FF00FFFA
	v_mul_f32_dpp v124, v251, v124 quad_perm:[0,0,0,0] row_mask:0xf bank_mask:0xf// 000000005110: 0AF8F8FA FF0000FB
	v_mul_f32_dpp v125, v251, v125 quad_perm:[1,1,1,1] row_mask:0xf bank_mask:0xf// 000000005118: 0AFAFAFA FF0055FB
	v_mul_f32_dpp v126, v251, v126 quad_perm:[2,2,2,2] row_mask:0xf bank_mask:0xf// 000000005120: 0AFCFCFA FF00AAFB
	v_mul_f32_dpp v127, v251, v127 quad_perm:[3,3,3,3] row_mask:0xf bank_mask:0xf// 000000005128: 0AFEFEFA FF00FFFB
	s_and_b32 s60, s72, 0xff                                   // 000000005130: 863CFF48 000000FF
	v_mov_b32_e32 v65, s60                                     // 000000005138: 7E82023C
	v_lshrrev_b32_e32 v240, 4, v0                              // 00000000513C: 21E00084
	v_mul_i32_i24_e32 v240, 4, v240                            // 000000005140: 0DE1E084
	s_mul_i32 s60, s7, 16                                      // 000000005144: 923C9007
	v_add_u32_e32 v240, s60, v240                              // 000000005148: 69E1E03C
	v_add_u32_e32 v241, 1, v240                                // 00000000514C: 69E3E081
	v_add_u32_e32 v242, 2, v240                                // 000000005150: 69E5E082
	v_add_u32_e32 v243, 3, v240                                // 000000005154: 69E7E083
	v_mov_b32_e32 v64, 0xff800000                              // 000000005158: 7E8002FF FF800000
	v_cmp_lt_u32_e64 s[40:41], v240, v65                       // 000000005160: D0C90028 000283F0
	v_add_u32_e32 v240, 64, v240                               // 000000005168: 69E1E0C0
	s_nop 0                                                    // 00000000516C: BF800000
	v_cndmask_b32_e64 v112, v64, v112, s[40:41]                // 000000005170: D1000070 00A2E140
	v_cmp_lt_u32_e64 s[40:41], v241, v65                       // 000000005178: D0C90028 000283F1
	v_add_u32_e32 v241, 64, v241                               // 000000005180: 69E3E2C0
	s_nop 0                                                    // 000000005184: BF800000
	v_cndmask_b32_e64 v113, v64, v113, s[40:41]                // 000000005188: D1000071 00A2E340
	v_cmp_lt_u32_e64 s[40:41], v242, v65                       // 000000005190: D0C90028 000283F2
	v_add_u32_e32 v242, 64, v242                               // 000000005198: 69E5E4C0
	s_nop 0                                                    // 00000000519C: BF800000
	v_cndmask_b32_e64 v114, v64, v114, s[40:41]                // 0000000051A0: D1000072 00A2E540
	v_cmp_lt_u32_e64 s[40:41], v243, v65                       // 0000000051A8: D0C90028 000283F3
	v_add_u32_e32 v243, 64, v243                               // 0000000051B0: 69E7E6C0
	s_nop 0                                                    // 0000000051B4: BF800000
	v_cndmask_b32_e64 v115, v64, v115, s[40:41]                // 0000000051B8: D1000073 00A2E740
	v_cmp_lt_u32_e64 s[40:41], v240, v65                       // 0000000051C0: D0C90028 000283F0
	v_add_u32_e32 v240, 64, v240                               // 0000000051C8: 69E1E0C0
	s_nop 0                                                    // 0000000051CC: BF800000
	v_cndmask_b32_e64 v116, v64, v116, s[40:41]                // 0000000051D0: D1000074 00A2E940
	v_cmp_lt_u32_e64 s[40:41], v241, v65                       // 0000000051D8: D0C90028 000283F1
	v_add_u32_e32 v241, 64, v241                               // 0000000051E0: 69E3E2C0
	s_nop 0                                                    // 0000000051E4: BF800000
	v_cndmask_b32_e64 v117, v64, v117, s[40:41]                // 0000000051E8: D1000075 00A2EB40
	v_cmp_lt_u32_e64 s[40:41], v242, v65                       // 0000000051F0: D0C90028 000283F2
	v_add_u32_e32 v242, 64, v242                               // 0000000051F8: 69E5E4C0
	s_nop 0                                                    // 0000000051FC: BF800000
	v_cndmask_b32_e64 v118, v64, v118, s[40:41]                // 000000005200: D1000076 00A2ED40
	v_cmp_lt_u32_e64 s[40:41], v243, v65                       // 000000005208: D0C90028 000283F3
	v_add_u32_e32 v243, 64, v243                               // 000000005210: 69E7E6C0
	s_nop 0                                                    // 000000005214: BF800000
	v_cndmask_b32_e64 v119, v64, v119, s[40:41]                // 000000005218: D1000077 00A2EF40
	v_cmp_lt_u32_e64 s[40:41], v240, v65                       // 000000005220: D0C90028 000283F0
	v_add_u32_e32 v240, 64, v240                               // 000000005228: 69E1E0C0
	s_nop 0                                                    // 00000000522C: BF800000
	v_cndmask_b32_e64 v120, v64, v120, s[40:41]                // 000000005230: D1000078 00A2F140
	v_cmp_lt_u32_e64 s[40:41], v241, v65                       // 000000005238: D0C90028 000283F1
	v_add_u32_e32 v241, 64, v241                               // 000000005240: 69E3E2C0
	s_nop 0                                                    // 000000005244: BF800000
	v_cndmask_b32_e64 v121, v64, v121, s[40:41]                // 000000005248: D1000079 00A2F340
	v_cmp_lt_u32_e64 s[40:41], v242, v65                       // 000000005250: D0C90028 000283F2
	v_add_u32_e32 v242, 64, v242                               // 000000005258: 69E5E4C0
	s_nop 0                                                    // 00000000525C: BF800000
	v_cndmask_b32_e64 v122, v64, v122, s[40:41]                // 000000005260: D100007A 00A2F540
	v_cmp_lt_u32_e64 s[40:41], v243, v65                       // 000000005268: D0C90028 000283F3
	v_add_u32_e32 v243, 64, v243                               // 000000005270: 69E7E6C0
	s_nop 0                                                    // 000000005274: BF800000
	v_cndmask_b32_e64 v123, v64, v123, s[40:41]                // 000000005278: D100007B 00A2F740
	v_cmp_lt_u32_e64 s[40:41], v240, v65                       // 000000005280: D0C90028 000283F0
	v_add_u32_e32 v240, 64, v240                               // 000000005288: 69E1E0C0
	s_nop 0                                                    // 00000000528C: BF800000
	v_cndmask_b32_e64 v124, v64, v124, s[40:41]                // 000000005290: D100007C 00A2F940
	v_cmp_lt_u32_e64 s[40:41], v241, v65                       // 000000005298: D0C90028 000283F1
	v_add_u32_e32 v241, 64, v241                               // 0000000052A0: 69E3E2C0
	s_nop 0                                                    // 0000000052A4: BF800000
	v_cndmask_b32_e64 v125, v64, v125, s[40:41]                // 0000000052A8: D100007D 00A2FB40
	v_cmp_lt_u32_e64 s[40:41], v242, v65                       // 0000000052B0: D0C90028 000283F2
	v_add_u32_e32 v242, 64, v242                               // 0000000052B8: 69E5E4C0
	s_nop 0                                                    // 0000000052BC: BF800000
	v_cndmask_b32_e64 v126, v64, v126, s[40:41]                // 0000000052C0: D100007E 00A2FD40
	v_cmp_lt_u32_e64 s[40:41], v243, v65                       // 0000000052C8: D0C90028 000283F3
	v_add_u32_e32 v243, 64, v243                               // 0000000052D0: 69E7E6C0
	s_nop 0                                                    // 0000000052D4: BF800000
	v_cndmask_b32_e64 v127, v64, v127, s[40:41]                // 0000000052D8: D100007F 00A2FF40
	v_mov_b32_e32 v48, v112                                    // 0000000052E0: 7E600370
	v_max3_f32 v48, v112, v113, v48                            // 0000000052E4: D1D30030 04C2E370
	v_max3_f32 v48, v114, v115, v48                            // 0000000052EC: D1D30030 04C2E772
	v_max3_f32 v48, v116, v117, v48                            // 0000000052F4: D1D30030 04C2EB74
	v_max3_f32 v48, v118, v119, v48                            // 0000000052FC: D1D30030 04C2EF76
	v_max3_f32 v48, v120, v121, v48                            // 000000005304: D1D30030 04C2F378
	v_max3_f32 v48, v122, v123, v48                            // 00000000530C: D1D30030 04C2F77A
	v_max3_f32 v48, v124, v125, v48                            // 000000005314: D1D30030 04C2FB7C
	v_max3_f32 v48, v126, v127, v48                            // 00000000531C: D1D30030 04C2FF7E
	ds_write_b32 v8, v48 offset:16896                          // 000000005324: D81A4200 00003008
	v_mul_u32_u24_dpp v64, v17, v54 row_newbcast:1 row_mask:0xf bank_mask:0xf// 00000000532C: 10806CFA FF015111
	v_mul_u32_u24_dpp v65, v17, v54 row_newbcast:5 row_mask:0xf bank_mask:0xf// 000000005334: 10826CFA FF015511
	v_mul_u32_u24_dpp v66, v17, v54 row_newbcast:9 row_mask:0xf bank_mask:0xf// 00000000533C: 10846CFA FF015911
	v_mul_u32_u24_dpp v67, v17, v54 row_newbcast:13 row_mask:0xf bank_mask:0xf// 000000005344: 10866CFA FF015D11
	v_add_u32_e32 v34, v64, v6                                 // 00000000534C: 68440D40
	v_add_u32_e32 v35, v65, v6                                 // 000000005350: 68460D41
	v_add_u32_e32 v36, v66, v6                                 // 000000005354: 68480D42
	v_add_u32_e32 v37, v67, v6                                 // 000000005358: 684A0D43
	v_mul_f32_e32 v208, v49, v208                              // 00000000535C: 0BA1A131
	v_mul_f32_e32 v209, v49, v209                              // 000000005360: 0BA3A331
	v_mul_f32_e32 v210, v49, v210                              // 000000005364: 0BA5A531
	v_mul_f32_e32 v211, v49, v211                              // 000000005368: 0BA7A731
	v_mul_f32_e32 v212, v49, v212                              // 00000000536C: 0BA9A931
	v_mul_f32_e32 v213, v49, v213                              // 000000005370: 0BABAB31
	v_mul_f32_e32 v214, v49, v214                              // 000000005374: 0BADAD31
	v_mul_f32_e32 v215, v49, v215                              // 000000005378: 0BAFAF31
	s_waitcnt lgkmcnt(0)                                       // 00000000537C: BF8CC07F
	s_barrier                                                  // 000000005380: BF8A0000
	ds_read_b32 v64, v7 offset:16896                           // 000000005384: D86C4200 40000007
	ds_read_b32 v65, v7 offset:16960                           // 00000000538C: D86C4240 41000007
	ds_read_b32 v66, v7 offset:17024                           // 000000005394: D86C4280 42000007
	ds_read_b32 v67, v7 offset:17088                           // 00000000539C: D86C42C0 43000007
	ds_read_b32 v68, v7 offset:17152                           // 0000000053A4: D86C4300 44000007
	ds_read_b32 v69, v7 offset:17216                           // 0000000053AC: D86C4340 45000007
	ds_read_b32 v70, v7 offset:17280                           // 0000000053B4: D86C4380 46000007
	ds_read_b32 v71, v7 offset:17344                           // 0000000053BC: D86C43C0 47000007
	ds_read_b32 v72, v7 offset:17408                           // 0000000053C4: D86C4400 48000007
	ds_read_b32 v73, v7 offset:17472                           // 0000000053CC: D86C4440 49000007
	ds_read_b32 v74, v7 offset:17536                           // 0000000053D4: D86C4480 4A000007
	ds_read_b32 v75, v7 offset:17600                           // 0000000053DC: D86C44C0 4B000007
	ds_read_b32 v76, v7 offset:17664                           // 0000000053E4: D86C4500 4C000007
	ds_read_b32 v77, v7 offset:17728                           // 0000000053EC: D86C4540 4D000007
	ds_read_b32 v78, v7 offset:17792                           // 0000000053F4: D86C4580 4E000007
	ds_read_b32 v79, v7 offset:17856                           // 0000000053FC: D86C45C0 4F000007
	v_mul_f32_e32 v176, v44, v176                              // 000000005404: 0B61612C
	v_mul_f32_e32 v177, v44, v177                              // 000000005408: 0B63632C
	v_mul_f32_e32 v178, v44, v178                              // 00000000540C: 0B65652C
	v_mul_f32_e32 v179, v44, v179                              // 000000005410: 0B67672C
	v_mul_f32_e32 v180, v44, v180                              // 000000005414: 0B69692C
	v_mul_f32_e32 v181, v44, v181                              // 000000005418: 0B6B6B2C
	v_mul_f32_e32 v182, v44, v182                              // 00000000541C: 0B6D6D2C
	v_mul_f32_e32 v183, v44, v183                              // 000000005420: 0B6F6F2C
	s_waitcnt lgkmcnt(0)                                       // 000000005424: BF8CC07F
	v_max3_f32 v48, v64, v65, v48                              // 000000005428: D1D30030 04C28340
	v_max3_f32 v48, v66, v67, v48                              // 000000005430: D1D30030 04C28742
	v_max3_f32 v48, v68, v69, v48                              // 000000005438: D1D30030 04C28B44
	v_max3_f32 v48, v70, v71, v48                              // 000000005440: D1D30030 04C28F46
	v_max3_f32 v48, v72, v73, v48                              // 000000005448: D1D30030 04C29348
	v_max3_f32 v48, v74, v75, v48                              // 000000005450: D1D30030 04C2974A
	v_max3_f32 v48, v76, v77, v48                              // 000000005458: D1D30030 04C29B4C
	v_max3_f32 v48, v78, v79, v48                              // 000000005460: D1D30030 04C29F4E
	v_mov_b32_e32 v64, 0xff800000                              // 000000005468: 7E8002FF FF800000
	v_cmp_eq_u32_e64 s[40:41], v64, v11                        // 000000005470: D0CA0028 00021740
	s_nop 1                                                    // 000000005478: BF800001
	v_max_f32_e32 v15, v48, v11                                // 00000000547C: 161E1730
	v_mul_f32_e32 v53, s64, v15                                // 000000005480: 0A6A1E40
	v_fma_f32 v112, v112, s64, -v53                            // 000000005484: D1CB0070 84D48170
	v_fma_f32 v113, v113, s64, -v53                            // 00000000548C: D1CB0071 84D48171
	v_fma_f32 v114, v114, s64, -v53                            // 000000005494: D1CB0072 84D48172
	v_fma_f32 v115, v115, s64, -v53                            // 00000000549C: D1CB0073 84D48173
	v_fma_f32 v116, v116, s64, -v53                            // 0000000054A4: D1CB0074 84D48174
	v_fma_f32 v117, v117, s64, -v53                            // 0000000054AC: D1CB0075 84D48175
	v_fma_f32 v118, v118, s64, -v53                            // 0000000054B4: D1CB0076 84D48176
	v_fma_f32 v119, v119, s64, -v53                            // 0000000054BC: D1CB0077 84D48177
	v_fma_f32 v120, v120, s64, -v53                            // 0000000054C4: D1CB0078 84D48178
	v_fma_f32 v121, v121, s64, -v53                            // 0000000054CC: D1CB0079 84D48179
	v_fma_f32 v122, v122, s64, -v53                            // 0000000054D4: D1CB007A 84D4817A
	v_fma_f32 v123, v123, s64, -v53                            // 0000000054DC: D1CB007B 84D4817B
	v_fma_f32 v124, v124, s64, -v53                            // 0000000054E4: D1CB007C 84D4817C
	v_fma_f32 v125, v125, s64, -v53                            // 0000000054EC: D1CB007D 84D4817D
	v_fma_f32 v126, v126, s64, -v53                            // 0000000054F4: D1CB007E 84D4817E
	v_fma_f32 v127, v127, s64, -v53                            // 0000000054FC: D1CB007F 84D4817F
	v_exp_f32_e32 v112, v112                                   // 000000005504: 7EE04170
	v_exp_f32_e32 v113, v113                                   // 000000005508: 7EE24171
	v_exp_f32_e32 v114, v114                                   // 00000000550C: 7EE44172
	v_exp_f32_e32 v115, v115                                   // 000000005510: 7EE64173
	v_exp_f32_e32 v116, v116                                   // 000000005514: 7EE84174
	v_exp_f32_e32 v117, v117                                   // 000000005518: 7EEA4175
	v_exp_f32_e32 v118, v118                                   // 00000000551C: 7EEC4176
	v_exp_f32_e32 v119, v119                                   // 000000005520: 7EEE4177
	v_exp_f32_e32 v120, v120                                   // 000000005524: 7EF04178
	v_exp_f32_e32 v121, v121                                   // 000000005528: 7EF24179
	v_exp_f32_e32 v122, v122                                   // 00000000552C: 7EF4417A
	v_exp_f32_e32 v123, v123                                   // 000000005530: 7EF6417B
	v_exp_f32_e32 v124, v124                                   // 000000005534: 7EF8417C
	v_exp_f32_e32 v125, v125                                   // 000000005538: 7EFA417D
	v_exp_f32_e32 v126, v126                                   // 00000000553C: 7EFC417E
	v_exp_f32_e32 v127, v127                                   // 000000005540: 7EFE417F
	v_mul_f32_dpp v240, v252, v112 quad_perm:[0,0,0,0] row_mask:0xf bank_mask:0xf// 000000005544: 0BE0E0FA FF0000FC
	v_mul_f32_dpp v241, v252, v113 quad_perm:[1,1,1,1] row_mask:0xf bank_mask:0xf// 00000000554C: 0BE2E2FA FF0055FC
	v_mul_f32_dpp v242, v252, v114 quad_perm:[2,2,2,2] row_mask:0xf bank_mask:0xf// 000000005554: 0BE4E4FA FF00AAFC
	v_mul_f32_dpp v243, v252, v115 quad_perm:[3,3,3,3] row_mask:0xf bank_mask:0xf// 00000000555C: 0BE6E6FA FF00FFFC
	v_mul_f32_dpp v244, v253, v116 quad_perm:[0,0,0,0] row_mask:0xf bank_mask:0xf// 000000005564: 0BE8E8FA FF0000FD
	v_mul_f32_dpp v245, v253, v117 quad_perm:[1,1,1,1] row_mask:0xf bank_mask:0xf// 00000000556C: 0BEAEAFA FF0055FD
	v_mul_f32_dpp v246, v253, v118 quad_perm:[2,2,2,2] row_mask:0xf bank_mask:0xf// 000000005574: 0BECECFA FF00AAFD
	v_mul_f32_dpp v247, v253, v119 quad_perm:[3,3,3,3] row_mask:0xf bank_mask:0xf// 00000000557C: 0BEEEEFA FF00FFFD
	v_mul_f32_dpp v248, v254, v120 quad_perm:[0,0,0,0] row_mask:0xf bank_mask:0xf// 000000005584: 0BF0F0FA FF0000FE
	v_mul_f32_dpp v249, v254, v121 quad_perm:[1,1,1,1] row_mask:0xf bank_mask:0xf// 00000000558C: 0BF2F2FA FF0055FE
	v_mul_f32_dpp v250, v254, v122 quad_perm:[2,2,2,2] row_mask:0xf bank_mask:0xf// 000000005594: 0BF4F4FA FF00AAFE
	v_mul_f32_dpp v251, v254, v123 quad_perm:[3,3,3,3] row_mask:0xf bank_mask:0xf// 00000000559C: 0BF6F6FA FF00FFFE
	v_mul_f32_dpp v252, v255, v124 quad_perm:[0,0,0,0] row_mask:0xf bank_mask:0xf// 0000000055A4: 0BF8F8FA FF0000FF
	v_mul_f32_dpp v253, v255, v125 quad_perm:[1,1,1,1] row_mask:0xf bank_mask:0xf// 0000000055AC: 0BFAFAFA FF0055FF
	v_mul_f32_dpp v254, v255, v126 quad_perm:[2,2,2,2] row_mask:0xf bank_mask:0xf// 0000000055B4: 0BFCFCFA FF00AAFF
	v_mul_f32_dpp v255, v255, v127 quad_perm:[3,3,3,3] row_mask:0xf bank_mask:0xf// 0000000055BC: 0BFEFEFA FF00FFFF
	v_mov_b32_e32 v48, 0x358637bd                              // 0000000055C4: 7E6002FF 358637BD
	v_max3_f32 v48, |v240|, |v241|, v48                        // 0000000055CC: D1D30330 04C3E3F0
	v_max3_f32 v48, |v242|, |v243|, v48                        // 0000000055D4: D1D30330 04C3E7F2
	v_max3_f32 v48, |v244|, |v245|, v48                        // 0000000055DC: D1D30330 04C3EBF4
	v_max3_f32 v48, |v246|, |v247|, v48                        // 0000000055E4: D1D30330 04C3EFF6
	v_max3_f32 v48, |v248|, |v249|, v48                        // 0000000055EC: D1D30330 04C3F3F8
	v_max3_f32 v48, |v250|, |v251|, v48                        // 0000000055F4: D1D30330 04C3F7FA
	v_max3_f32 v48, |v252|, |v253|, v48                        // 0000000055FC: D1D30330 04C3FBFC
	v_max3_f32 v48, |v254|, |v255|, v48                        // 000000005604: D1D30330 04C3FFFE
	ds_write_b32 v8, v48 offset:20992                          // 00000000560C: D81A5200 00003008
	v_sub_f32_e32 v49, v11, v15                                // 000000005614: 04621F0B
	v_cndmask_b32_e64 v49, v49, 0, s[40:41]                    // 000000005618: D1000031 00A10131
	v_mov_b32_e32 v11, v15                                     // 000000005620: 7E16030F
	v_mul_f32_e32 v49, s64, v49                                // 000000005624: 0A626240
	v_exp_f32_e32 v49, v49                                     // 000000005628: 7E624131
	s_waitcnt lgkmcnt(0)                                       // 00000000562C: BF8CC07F
	s_barrier                                                  // 000000005630: BF8A0000
	ds_read_b32 v64, v7 offset:20992                           // 000000005634: D86C5200 40000007
	ds_read_b32 v65, v7 offset:21056                           // 00000000563C: D86C5240 41000007
	ds_read_b32 v66, v7 offset:21120                           // 000000005644: D86C5280 42000007
	ds_read_b32 v67, v7 offset:21184                           // 00000000564C: D86C52C0 43000007
	ds_read_b32 v68, v7 offset:21248                           // 000000005654: D86C5300 44000007
	ds_read_b32 v69, v7 offset:21312                           // 00000000565C: D86C5340 45000007
	ds_read_b32 v70, v7 offset:21376                           // 000000005664: D86C5380 46000007
	ds_read_b32 v71, v7 offset:21440                           // 00000000566C: D86C53C0 47000007
	ds_read_b32 v72, v7 offset:21504                           // 000000005674: D86C5400 48000007
	ds_read_b32 v73, v7 offset:21568                           // 00000000567C: D86C5440 49000007
	ds_read_b32 v74, v7 offset:21632                           // 000000005684: D86C5480 4A000007
	ds_read_b32 v75, v7 offset:21696                           // 00000000568C: D86C54C0 4B000007
	ds_read_b32 v76, v7 offset:21760                           // 000000005694: D86C5500 4C000007
	ds_read_b32 v77, v7 offset:21824                           // 00000000569C: D86C5540 4D000007
	ds_read_b32 v78, v7 offset:21888                           // 0000000056A4: D86C5580 4E000007
	ds_read_b32 v79, v7 offset:21952                           // 0000000056AC: D86C55C0 4F000007
	v_mul_f32_e32 v38, v49, v38                                // 0000000056B4: 0A4C4D31
	v_mov_b32_e32 v15, v112                                    // 0000000056B8: 7E1E0370
	v_add_f32_e32 v15, v113, v15                               // 0000000056BC: 021E1F71
	v_add_f32_e32 v15, v114, v15                               // 0000000056C0: 021E1F72
	v_add_f32_e32 v15, v115, v15                               // 0000000056C4: 021E1F73
	v_add_f32_e32 v15, v116, v15                               // 0000000056C8: 021E1F74
	v_add_f32_e32 v15, v117, v15                               // 0000000056CC: 021E1F75
	v_add_f32_e32 v15, v118, v15                               // 0000000056D0: 021E1F76
	v_add_f32_e32 v15, v119, v15                               // 0000000056D4: 021E1F77
	v_add_f32_e32 v15, v120, v15                               // 0000000056D8: 021E1F78
	v_add_f32_e32 v15, v121, v15                               // 0000000056DC: 021E1F79
	v_add_f32_e32 v15, v122, v15                               // 0000000056E0: 021E1F7A
	v_add_f32_e32 v15, v123, v15                               // 0000000056E4: 021E1F7B
	v_add_f32_e32 v15, v124, v15                               // 0000000056E8: 021E1F7C
	v_add_f32_e32 v15, v125, v15                               // 0000000056EC: 021E1F7D
	v_add_f32_e32 v15, v126, v15                               // 0000000056F0: 021E1F7E
	v_add_f32_e32 v15, v127, v15                               // 0000000056F4: 021E1F7F
	v_add_f32_e32 v38, v15, v38                                // 0000000056F8: 024C4D0F
	s_waitcnt lgkmcnt(0)                                       // 0000000056FC: BF8CC07F
	v_max3_f32 v48, |v64|, |v65|, v48                          // 000000005700: D1D30330 04C28340
	v_max3_f32 v48, |v66|, |v67|, v48                          // 000000005708: D1D30330 04C28742
	v_max3_f32 v48, |v68|, |v69|, v48                          // 000000005710: D1D30330 04C28B44
	v_max3_f32 v48, |v70|, |v71|, v48                          // 000000005718: D1D30330 04C28F46
	v_max3_f32 v48, |v72|, |v73|, v48                          // 000000005720: D1D30330 04C29348
	v_max3_f32 v48, |v74|, |v75|, v48                          // 000000005728: D1D30330 04C2974A
	v_max3_f32 v48, |v76|, |v77|, v48                          // 000000005730: D1D30330 04C29B4C
	v_max3_f32 v48, |v78|, |v79|, v48                          // 000000005738: D1D30330 04C29F4E
	s_nop 2                                                    // 000000005740: BF800002
	v_rcp_f32_e32 v48, v48                                     // 000000005744: 7E604530
	s_nop 1                                                    // 000000005748: BF800001
	v_mul_f32_e32 v48, 0x43e00000, v48                         // 00000000574C: 0A6060FF 43E00000
	v_mul_f32_e32 v112, v48, v240                              // 000000005754: 0AE1E130
	v_mul_f32_e32 v113, v48, v241                              // 000000005758: 0AE3E330
	v_mul_f32_e32 v114, v48, v242                              // 00000000575C: 0AE5E530
	v_mul_f32_e32 v115, v48, v243                              // 000000005760: 0AE7E730
	v_mul_f32_e32 v116, v48, v244                              // 000000005764: 0AE9E930
	v_mul_f32_e32 v117, v48, v245                              // 000000005768: 0AEBEB30
	v_mul_f32_e32 v118, v48, v246                              // 00000000576C: 0AEDED30
	v_mul_f32_e32 v119, v48, v247                              // 000000005770: 0AEFEF30
	v_mul_f32_e32 v120, v48, v248                              // 000000005774: 0AF1F130
	v_mul_f32_e32 v121, v48, v249                              // 000000005778: 0AF3F330
	v_mul_f32_e32 v122, v48, v250                              // 00000000577C: 0AF5F530
	v_mul_f32_e32 v123, v48, v251                              // 000000005780: 0AF7F730
	v_mul_f32_e32 v124, v48, v252                              // 000000005784: 0AF9F930
	v_mul_f32_e32 v125, v48, v253                              // 000000005788: 0AFBFB30
	v_mul_f32_e32 v126, v48, v254                              // 00000000578C: 0AFDFD30
	v_mul_f32_e32 v127, v48, v255                              // 000000005790: 0AFFFF30
	v_cvt_pk_fp8_f32 v112, v112, v113                          // 000000005794: D2A20070 0002E370
	v_cvt_pk_fp8_f32 v112, v114, v115 op_sel:[0,0,1]           // 00000000579C: D2A24070 0002E772
	v_cvt_pk_fp8_f32 v113, v116, v117                          // 0000000057A4: D2A20071 0002EB74
	v_cvt_pk_fp8_f32 v113, v118, v119 op_sel:[0,0,1]           // 0000000057AC: D2A24071 0002EF76
	v_cvt_pk_fp8_f32 v114, v120, v121                          // 0000000057B4: D2A20072 0002F378
	v_cvt_pk_fp8_f32 v114, v122, v123 op_sel:[0,0,1]           // 0000000057BC: D2A24072 0002F77A
	v_cvt_pk_fp8_f32 v115, v124, v125                          // 0000000057C4: D2A20073 0002FB7C
	v_cvt_pk_fp8_f32 v115, v126, v127 op_sel:[0,0,1]           // 0000000057CC: D2A24073 0002FF7E
	ds_write_b32 v10, v112 offset:25088                        // 0000000057D4: D81A6200 0000700A
	ds_write_b32 v10, v113 offset:26112                        // 0000000057DC: D81A6600 0000710A
	ds_write_b32 v10, v114 offset:27136                        // 0000000057E4: D81A6A00 0000720A
	ds_write_b32 v10, v115 offset:28160                        // 0000000057EC: D81A6E00 0000730A
	v_add_f32_e32 v208, v208, v176                             // 0000000057F4: 03A161D0
	v_add_f32_e32 v209, v209, v177                             // 0000000057F8: 03A363D1
	v_add_f32_e32 v210, v210, v178                             // 0000000057FC: 03A565D2
	v_add_f32_e32 v211, v211, v179                             // 000000005800: 03A767D3
	v_add_f32_e32 v212, v212, v180                             // 000000005804: 03A969D4
	v_add_f32_e32 v213, v213, v181                             // 000000005808: 03AB6BD5
	v_add_f32_e32 v214, v214, v182                             // 00000000580C: 03AD6DD6
	v_add_f32_e32 v215, v215, v183                             // 000000005810: 03AF6FD7
	v_rcp_f32_e32 v44, v48                                     // 000000005814: 7E584530
	s_waitcnt lgkmcnt(0)                                       // 000000005818: BF8CC07F
	s_barrier                                                  // 00000000581C: BF8A0000
	ds_read_b64 v[112:113], v9 offset:25088                    // 000000005820: D8EC6200 70000009
	ds_read_b64 v[114:115], v9 offset:25216                    // 000000005828: D8EC6280 72000009
	ds_read_b64 v[116:117], v9 offset:26112                    // 000000005830: D8EC6600 74000009
	ds_read_b64 v[118:119], v9 offset:26240                    // 000000005838: D8EC6680 76000009
	ds_read_b64 v[120:121], v9 offset:27136                    // 000000005840: D8EC6A00 78000009
	ds_read_b64 v[122:123], v9 offset:27264                    // 000000005848: D8EC6A80 7A000009
	ds_read_b64 v[124:125], v9 offset:28160                    // 000000005850: D8EC6E00 7C000009
	ds_read_b64 v[126:127], v9 offset:28288                    // 000000005858: D8EC6E80 7E000009
	s_waitcnt vmcnt(0)                                         // 000000005860: BF8C0F70
	s_barrier                                                  // 000000005864: BF8A0000
	s_waitcnt lgkmcnt(7)                                       // 000000005868: BF8CC77F
	v_mfma_f32_16x16x32_fp8_fp8 v[176:179], a[64:65], v[112:113], 0// 00000000586C: D3F300B0 0A02E140
	s_waitcnt lgkmcnt(6)                                       // 000000005874: BF8CC67F
	v_mfma_f32_16x16x32_fp8_fp8 v[176:179], a[66:67], v[114:115], v[176:179]// 000000005878: D3F300B0 0EC2E542
	s_waitcnt lgkmcnt(5)                                       // 000000005880: BF8CC57F
	v_mfma_f32_16x16x32_fp8_fp8 v[176:179], a[68:69], v[116:117], v[176:179]// 000000005884: D3F300B0 0EC2E944
	s_waitcnt lgkmcnt(4)                                       // 00000000588C: BF8CC47F
	v_mfma_f32_16x16x32_fp8_fp8 v[176:179], a[70:71], v[118:119], v[176:179]// 000000005890: D3F300B0 0EC2ED46
	s_waitcnt lgkmcnt(3)                                       // 000000005898: BF8CC37F
	v_mfma_f32_16x16x32_fp8_fp8 v[176:179], a[72:73], v[120:121], v[176:179]// 00000000589C: D3F300B0 0EC2F148
	s_waitcnt lgkmcnt(2)                                       // 0000000058A4: BF8CC27F
	v_mfma_f32_16x16x32_fp8_fp8 v[176:179], a[74:75], v[122:123], v[176:179]// 0000000058A8: D3F300B0 0EC2F54A
	s_waitcnt lgkmcnt(1)                                       // 0000000058B0: BF8CC17F
	v_mfma_f32_16x16x32_fp8_fp8 v[176:179], a[76:77], v[124:125], v[176:179]// 0000000058B4: D3F300B0 0EC2F94C
	s_waitcnt lgkmcnt(0)                                       // 0000000058BC: BF8CC07F
	v_mfma_f32_16x16x32_fp8_fp8 v[176:179], a[78:79], v[126:127], v[176:179]// 0000000058C0: D3F300B0 0EC2FD4E
	v_mfma_f32_16x16x32_fp8_fp8 v[180:183], a[80:81], v[112:113], 0// 0000000058C8: D3F300B4 0A02E150
	v_mfma_f32_16x16x32_fp8_fp8 v[180:183], a[82:83], v[114:115], v[180:183]// 0000000058D0: D3F300B4 0ED2E552
	v_mfma_f32_16x16x32_fp8_fp8 v[180:183], a[84:85], v[116:117], v[180:183]// 0000000058D8: D3F300B4 0ED2E954
	v_mfma_f32_16x16x32_fp8_fp8 v[180:183], a[86:87], v[118:119], v[180:183]// 0000000058E0: D3F300B4 0ED2ED56
	v_mfma_f32_16x16x32_fp8_fp8 v[180:183], a[88:89], v[120:121], v[180:183]// 0000000058E8: D3F300B4 0ED2F158
	v_mfma_f32_16x16x32_fp8_fp8 v[180:183], a[90:91], v[122:123], v[180:183]// 0000000058F0: D3F300B4 0ED2F55A
	v_mfma_f32_16x16x32_fp8_fp8 v[180:183], a[92:93], v[124:125], v[180:183]// 0000000058F8: D3F300B4 0ED2F95C
	v_mfma_f32_16x16x32_fp8_fp8 v[180:183], a[94:95], v[126:127], v[180:183]// 000000005900: D3F300B4 0ED2FD5E
	s_nop 4                                                    // 000000005908: BF800004
	s_branch label_1042                                        // 00000000590C: BF82027E

0000000000005910 <label_0DC4>:
	s_waitcnt vmcnt(8) lgkmcnt(0)                              // 000000005910: BF8C0078
	s_barrier                                                  // 000000005914: BF8A0000
	v_mfma_f32_16x16x32_fp8_fp8 v[112:115], a[32:33], v[80:81], 0// 000000005918: D3F30070 0A02A120
	v_mfma_f32_16x16x32_fp8_fp8 v[112:115], a[34:35], v[82:83], v[112:115]// 000000005920: D3F30070 0DC2A522
	v_mfma_f32_16x16x32_fp8_fp8 v[112:115], a[36:37], v[84:85], v[112:115]// 000000005928: D3F30070 0DC2A924
	v_mfma_f32_16x16x32_fp8_fp8 v[112:115], a[38:39], v[86:87], v[112:115]// 000000005930: D3F30070 0DC2AD26
	v_mfma_f32_16x16x32_fp8_fp8 v[116:119], a[40:41], v[80:81], 0// 000000005938: D3F30074 0A02A128
	v_mfma_f32_16x16x32_fp8_fp8 v[116:119], a[42:43], v[82:83], v[116:119]// 000000005940: D3F30074 0DD2A52A
	v_mfma_f32_16x16x32_fp8_fp8 v[116:119], a[44:45], v[84:85], v[116:119]// 000000005948: D3F30074 0DD2A92C
	v_mfma_f32_16x16x32_fp8_fp8 v[116:119], a[46:47], v[86:87], v[116:119]// 000000005950: D3F30074 0DD2AD2E
	v_mfma_f32_16x16x32_fp8_fp8 v[120:123], a[48:49], v[80:81], 0// 000000005958: D3F30078 0A02A130
	v_mfma_f32_16x16x32_fp8_fp8 v[120:123], a[50:51], v[82:83], v[120:123]// 000000005960: D3F30078 0DE2A532
	v_mfma_f32_16x16x32_fp8_fp8 v[120:123], a[52:53], v[84:85], v[120:123]// 000000005968: D3F30078 0DE2A934
	v_mfma_f32_16x16x32_fp8_fp8 v[120:123], a[54:55], v[86:87], v[120:123]// 000000005970: D3F30078 0DE2AD36
	v_mfma_f32_16x16x32_fp8_fp8 v[124:127], a[56:57], v[80:81], 0// 000000005978: D3F3007C 0A02A138
	v_mfma_f32_16x16x32_fp8_fp8 v[124:127], a[58:59], v[82:83], v[124:127]// 000000005980: D3F3007C 0DF2A53A
	v_mfma_f32_16x16x32_fp8_fp8 v[124:127], a[60:61], v[84:85], v[124:127]// 000000005988: D3F3007C 0DF2A93C
	v_mfma_f32_16x16x32_fp8_fp8 v[124:127], a[62:63], v[86:87], v[124:127]// 000000005990: D3F3007C 0DF2AD3E
	v_mov_b32_dpp v64, v43 row_shr:4 row_mask:0xf bank_mask:0xf// 000000005998: 7E8002FA FF01142B
	v_mov_b32_dpp v65, v43 row_shl:4 row_mask:0xf bank_mask:0xf// 0000000059A0: 7E8202FA FF01042B
	v_cndmask_b32_e64 v248, v43, v64, s[44:45]                 // 0000000059A8: D10000F8 00B2812B
	v_cndmask_b32_e64 v249, v65, v43, s[44:45]                 // 0000000059B0: D10000F9 00B25741
	v_mov_b32_dpp v64, v248 row_shr:8 row_mask:0xf bank_mask:0xf// 0000000059B8: 7E8002FA FF0118F8
	v_mov_b32_dpp v65, v248 row_shl:8 row_mask:0xf bank_mask:0xf// 0000000059C0: 7E8202FA FF0108F8
	v_mov_b32_dpp v66, v249 row_shr:8 row_mask:0xf bank_mask:0xf// 0000000059C8: 7E8402FA FF0118F9
	v_mov_b32_dpp v67, v249 row_shl:8 row_mask:0xf bank_mask:0xf// 0000000059D0: 7E8602FA FF0108F9
	v_mov_b32_e32 v68, v248                                    // 0000000059D8: 7E8803F8
	v_mov_b32_e32 v69, v249                                    // 0000000059DC: 7E8A03F9
	v_cndmask_b32_e64 v248, v68, v64, s[42:43]                 // 0000000059E0: D10000F8 00AA8144
	v_cndmask_b32_e64 v250, v68, v65, s[78:79]                 // 0000000059E8: D10000FA 013A8344
	v_cndmask_b32_e64 v249, v69, v66, s[42:43]                 // 0000000059F0: D10000F9 00AA8545
	v_cndmask_b32_e64 v251, v69, v67, s[78:79]                 // 0000000059F8: D10000FB 013A8745
	v_mov_b32_dpp v64, v58 row_shr:4 row_mask:0xf bank_mask:0xf// 000000005A00: 7E8002FA FF01143A
	v_mov_b32_dpp v65, v58 row_shl:4 row_mask:0xf bank_mask:0xf// 000000005A08: 7E8202FA FF01043A
	v_cndmask_b32_e64 v252, v58, v64, s[44:45]                 // 000000005A10: D10000FC 00B2813A
	v_cndmask_b32_e64 v253, v65, v58, s[44:45]                 // 000000005A18: D10000FD 00B27541
	v_mov_b32_dpp v64, v252 row_shr:8 row_mask:0xf bank_mask:0xf// 000000005A20: 7E8002FA FF0118FC
	v_mov_b32_dpp v65, v252 row_shl:8 row_mask:0xf bank_mask:0xf// 000000005A28: 7E8202FA FF0108FC
	v_mov_b32_dpp v66, v253 row_shr:8 row_mask:0xf bank_mask:0xf// 000000005A30: 7E8402FA FF0118FD
	v_mov_b32_dpp v67, v253 row_shl:8 row_mask:0xf bank_mask:0xf// 000000005A38: 7E8602FA FF0108FD
	v_mov_b32_e32 v68, v252                                    // 000000005A40: 7E8803FC
	v_mov_b32_e32 v69, v253                                    // 000000005A44: 7E8A03FD
	v_cndmask_b32_e64 v252, v68, v64, s[42:43]                 // 000000005A48: D10000FC 00AA8144
	v_cndmask_b32_e64 v254, v68, v65, s[78:79]                 // 000000005A50: D10000FE 013A8344
	v_cndmask_b32_e64 v253, v69, v66, s[42:43]                 // 000000005A58: D10000FD 00AA8545
	v_cndmask_b32_e64 v255, v69, v67, s[78:79]                 // 000000005A60: D10000FF 013A8745
	v_mul_f32_e32 v112, v18, v112                              // 000000005A68: 0AE0E112
	v_mul_f32_e32 v113, v18, v113                              // 000000005A6C: 0AE2E312
	v_mul_f32_e32 v114, v18, v114                              // 000000005A70: 0AE4E512
	v_mul_f32_e32 v115, v18, v115                              // 000000005A74: 0AE6E712
	v_mul_f32_e32 v116, v18, v116                              // 000000005A78: 0AE8E912
	v_mul_f32_e32 v117, v18, v117                              // 000000005A7C: 0AEAEB12
	v_mul_f32_e32 v118, v18, v118                              // 000000005A80: 0AECED12
	v_mul_f32_e32 v119, v18, v119                              // 000000005A84: 0AEEEF12
	v_mul_f32_e32 v120, v18, v120                              // 000000005A88: 0AF0F112
	v_mul_f32_e32 v121, v18, v121                              // 000000005A8C: 0AF2F312
	v_mul_f32_e32 v122, v18, v122                              // 000000005A90: 0AF4F512
	v_mul_f32_e32 v123, v18, v123                              // 000000005A94: 0AF6F712
	v_mul_f32_e32 v124, v18, v124                              // 000000005A98: 0AF8F912
	v_mul_f32_e32 v125, v18, v125                              // 000000005A9C: 0AFAFB12
	v_mul_f32_e32 v126, v18, v126                              // 000000005AA0: 0AFCFD12
	v_mul_f32_e32 v127, v18, v127                              // 000000005AA4: 0AFEFF12
	v_mul_f32_dpp v112, v248, v112 quad_perm:[0,0,0,0] row_mask:0xf bank_mask:0xf// 000000005AA8: 0AE0E0FA FF0000F8
	v_mul_f32_dpp v113, v248, v113 quad_perm:[1,1,1,1] row_mask:0xf bank_mask:0xf// 000000005AB0: 0AE2E2FA FF0055F8
	v_mul_f32_dpp v114, v248, v114 quad_perm:[2,2,2,2] row_mask:0xf bank_mask:0xf// 000000005AB8: 0AE4E4FA FF00AAF8
	v_mul_f32_dpp v115, v248, v115 quad_perm:[3,3,3,3] row_mask:0xf bank_mask:0xf// 000000005AC0: 0AE6E6FA FF00FFF8
	v_mul_f32_dpp v116, v249, v116 quad_perm:[0,0,0,0] row_mask:0xf bank_mask:0xf// 000000005AC8: 0AE8E8FA FF0000F9
	v_mul_f32_dpp v117, v249, v117 quad_perm:[1,1,1,1] row_mask:0xf bank_mask:0xf// 000000005AD0: 0AEAEAFA FF0055F9
	v_mul_f32_dpp v118, v249, v118 quad_perm:[2,2,2,2] row_mask:0xf bank_mask:0xf// 000000005AD8: 0AECECFA FF00AAF9
	v_mul_f32_dpp v119, v249, v119 quad_perm:[3,3,3,3] row_mask:0xf bank_mask:0xf// 000000005AE0: 0AEEEEFA FF00FFF9
	v_mul_f32_dpp v120, v250, v120 quad_perm:[0,0,0,0] row_mask:0xf bank_mask:0xf// 000000005AE8: 0AF0F0FA FF0000FA
	v_mul_f32_dpp v121, v250, v121 quad_perm:[1,1,1,1] row_mask:0xf bank_mask:0xf// 000000005AF0: 0AF2F2FA FF0055FA
	v_mul_f32_dpp v122, v250, v122 quad_perm:[2,2,2,2] row_mask:0xf bank_mask:0xf// 000000005AF8: 0AF4F4FA FF00AAFA
	v_mul_f32_dpp v123, v250, v123 quad_perm:[3,3,3,3] row_mask:0xf bank_mask:0xf// 000000005B00: 0AF6F6FA FF00FFFA
	v_mul_f32_dpp v124, v251, v124 quad_perm:[0,0,0,0] row_mask:0xf bank_mask:0xf// 000000005B08: 0AF8F8FA FF0000FB
	v_mul_f32_dpp v125, v251, v125 quad_perm:[1,1,1,1] row_mask:0xf bank_mask:0xf// 000000005B10: 0AFAFAFA FF0055FB
	v_mul_f32_dpp v126, v251, v126 quad_perm:[2,2,2,2] row_mask:0xf bank_mask:0xf// 000000005B18: 0AFCFCFA FF00AAFB
	v_mul_f32_dpp v127, v251, v127 quad_perm:[3,3,3,3] row_mask:0xf bank_mask:0xf// 000000005B20: 0AFEFEFA FF00FFFB
	s_and_b32 s60, s72, 0xff                                   // 000000005B28: 863CFF48 000000FF
	v_mov_b32_e32 v65, s60                                     // 000000005B30: 7E82023C
	v_lshrrev_b32_e32 v240, 4, v0                              // 000000005B34: 21E00084
	v_mul_i32_i24_e32 v240, 4, v240                            // 000000005B38: 0DE1E084
	s_mul_i32 s60, s7, 16                                      // 000000005B3C: 923C9007
	v_add_u32_e32 v240, s60, v240                              // 000000005B40: 69E1E03C
	v_add_u32_e32 v241, 1, v240                                // 000000005B44: 69E3E081
	v_add_u32_e32 v242, 2, v240                                // 000000005B48: 69E5E082
	v_add_u32_e32 v243, 3, v240                                // 000000005B4C: 69E7E083
	v_mov_b32_e32 v64, 0xff800000                              // 000000005B50: 7E8002FF FF800000
	v_cmp_lt_u32_e64 s[40:41], v240, v65                       // 000000005B58: D0C90028 000283F0
	v_add_u32_e32 v240, 64, v240                               // 000000005B60: 69E1E0C0
	s_nop 0                                                    // 000000005B64: BF800000
	v_cndmask_b32_e64 v112, v64, v112, s[40:41]                // 000000005B68: D1000070 00A2E140
	v_cmp_lt_u32_e64 s[40:41], v241, v65                       // 000000005B70: D0C90028 000283F1
	v_add_u32_e32 v241, 64, v241                               // 000000005B78: 69E3E2C0
	s_nop 0                                                    // 000000005B7C: BF800000
	v_cndmask_b32_e64 v113, v64, v113, s[40:41]                // 000000005B80: D1000071 00A2E340
	v_cmp_lt_u32_e64 s[40:41], v242, v65                       // 000000005B88: D0C90028 000283F2
	v_add_u32_e32 v242, 64, v242                               // 000000005B90: 69E5E4C0
	s_nop 0                                                    // 000000005B94: BF800000
	v_cndmask_b32_e64 v114, v64, v114, s[40:41]                // 000000005B98: D1000072 00A2E540
	v_cmp_lt_u32_e64 s[40:41], v243, v65                       // 000000005BA0: D0C90028 000283F3
	v_add_u32_e32 v243, 64, v243                               // 000000005BA8: 69E7E6C0
	s_nop 0                                                    // 000000005BAC: BF800000
	v_cndmask_b32_e64 v115, v64, v115, s[40:41]                // 000000005BB0: D1000073 00A2E740
	v_cmp_lt_u32_e64 s[40:41], v240, v65                       // 000000005BB8: D0C90028 000283F0
	v_add_u32_e32 v240, 64, v240                               // 000000005BC0: 69E1E0C0
	s_nop 0                                                    // 000000005BC4: BF800000
	v_cndmask_b32_e64 v116, v64, v116, s[40:41]                // 000000005BC8: D1000074 00A2E940
	v_cmp_lt_u32_e64 s[40:41], v241, v65                       // 000000005BD0: D0C90028 000283F1
	v_add_u32_e32 v241, 64, v241                               // 000000005BD8: 69E3E2C0
	s_nop 0                                                    // 000000005BDC: BF800000
	v_cndmask_b32_e64 v117, v64, v117, s[40:41]                // 000000005BE0: D1000075 00A2EB40
	v_cmp_lt_u32_e64 s[40:41], v242, v65                       // 000000005BE8: D0C90028 000283F2
	v_add_u32_e32 v242, 64, v242                               // 000000005BF0: 69E5E4C0
	s_nop 0                                                    // 000000005BF4: BF800000
	v_cndmask_b32_e64 v118, v64, v118, s[40:41]                // 000000005BF8: D1000076 00A2ED40
	v_cmp_lt_u32_e64 s[40:41], v243, v65                       // 000000005C00: D0C90028 000283F3
	v_add_u32_e32 v243, 64, v243                               // 000000005C08: 69E7E6C0
	s_nop 0                                                    // 000000005C0C: BF800000
	v_cndmask_b32_e64 v119, v64, v119, s[40:41]                // 000000005C10: D1000077 00A2EF40
	v_cmp_lt_u32_e64 s[40:41], v240, v65                       // 000000005C18: D0C90028 000283F0
	v_add_u32_e32 v240, 64, v240                               // 000000005C20: 69E1E0C0
	s_nop 0                                                    // 000000005C24: BF800000
	v_cndmask_b32_e64 v120, v64, v120, s[40:41]                // 000000005C28: D1000078 00A2F140
	v_cmp_lt_u32_e64 s[40:41], v241, v65                       // 000000005C30: D0C90028 000283F1
	v_add_u32_e32 v241, 64, v241                               // 000000005C38: 69E3E2C0
	s_nop 0                                                    // 000000005C3C: BF800000
	v_cndmask_b32_e64 v121, v64, v121, s[40:41]                // 000000005C40: D1000079 00A2F340
	v_cmp_lt_u32_e64 s[40:41], v242, v65                       // 000000005C48: D0C90028 000283F2
	v_add_u32_e32 v242, 64, v242                               // 000000005C50: 69E5E4C0
	s_nop 0                                                    // 000000005C54: BF800000
	v_cndmask_b32_e64 v122, v64, v122, s[40:41]                // 000000005C58: D100007A 00A2F540
	v_cmp_lt_u32_e64 s[40:41], v243, v65                       // 000000005C60: D0C90028 000283F3
	v_add_u32_e32 v243, 64, v243                               // 000000005C68: 69E7E6C0
	s_nop 0                                                    // 000000005C6C: BF800000
	v_cndmask_b32_e64 v123, v64, v123, s[40:41]                // 000000005C70: D100007B 00A2F740
	v_cmp_lt_u32_e64 s[40:41], v240, v65                       // 000000005C78: D0C90028 000283F0
	v_add_u32_e32 v240, 64, v240                               // 000000005C80: 69E1E0C0
	s_nop 0                                                    // 000000005C84: BF800000
	v_cndmask_b32_e64 v124, v64, v124, s[40:41]                // 000000005C88: D100007C 00A2F940
	v_cmp_lt_u32_e64 s[40:41], v241, v65                       // 000000005C90: D0C90028 000283F1
	v_add_u32_e32 v241, 64, v241                               // 000000005C98: 69E3E2C0
	s_nop 0                                                    // 000000005C9C: BF800000
	v_cndmask_b32_e64 v125, v64, v125, s[40:41]                // 000000005CA0: D100007D 00A2FB40
	v_cmp_lt_u32_e64 s[40:41], v242, v65                       // 000000005CA8: D0C90028 000283F2
	v_add_u32_e32 v242, 64, v242                               // 000000005CB0: 69E5E4C0
	s_nop 0                                                    // 000000005CB4: BF800000
	v_cndmask_b32_e64 v126, v64, v126, s[40:41]                // 000000005CB8: D100007E 00A2FD40
	v_cmp_lt_u32_e64 s[40:41], v243, v65                       // 000000005CC0: D0C90028 000283F3
	v_add_u32_e32 v243, 64, v243                               // 000000005CC8: 69E7E6C0
	s_nop 0                                                    // 000000005CCC: BF800000
	v_cndmask_b32_e64 v127, v64, v127, s[40:41]                // 000000005CD0: D100007F 00A2FF40
	v_mov_b32_e32 v48, v112                                    // 000000005CD8: 7E600370
	v_max3_f32 v48, v112, v113, v48                            // 000000005CDC: D1D30030 04C2E370
	v_max3_f32 v48, v114, v115, v48                            // 000000005CE4: D1D30030 04C2E772
	v_max3_f32 v48, v116, v117, v48                            // 000000005CEC: D1D30030 04C2EB74
	v_max3_f32 v48, v118, v119, v48                            // 000000005CF4: D1D30030 04C2EF76
	v_max3_f32 v48, v120, v121, v48                            // 000000005CFC: D1D30030 04C2F378
	v_max3_f32 v48, v122, v123, v48                            // 000000005D04: D1D30030 04C2F77A
	v_max3_f32 v48, v124, v125, v48                            // 000000005D0C: D1D30030 04C2FB7C
	v_max3_f32 v48, v126, v127, v48                            // 000000005D14: D1D30030 04C2FF7E
	ds_write_b32 v8, v48 offset:16896                          // 000000005D1C: D81A4200 00003008
	v_mul_u32_u24_dpp v64, v16, v54 row_newbcast:1 row_mask:0xf bank_mask:0xf// 000000005D24: 10806CFA FF015110
	v_mul_u32_u24_dpp v65, v16, v54 row_newbcast:5 row_mask:0xf bank_mask:0xf// 000000005D2C: 10826CFA FF015510
	v_mul_u32_u24_dpp v66, v16, v54 row_newbcast:9 row_mask:0xf bank_mask:0xf// 000000005D34: 10846CFA FF015910
	v_mul_u32_u24_dpp v67, v16, v54 row_newbcast:13 row_mask:0xf bank_mask:0xf// 000000005D3C: 10866CFA FF015D10
	v_add_u32_e32 v30, v64, v6                                 // 000000005D44: 683C0D40
	v_add_u32_e32 v31, v65, v6                                 // 000000005D48: 683E0D41
	v_add_u32_e32 v32, v66, v6                                 // 000000005D4C: 68400D42
	v_add_u32_e32 v33, v67, v6                                 // 000000005D50: 68420D43
	v_mul_f32_e32 v208, v49, v208                              // 000000005D54: 0BA1A131
	v_mul_f32_e32 v209, v49, v209                              // 000000005D58: 0BA3A331
	v_mul_f32_e32 v210, v49, v210                              // 000000005D5C: 0BA5A531
	v_mul_f32_e32 v211, v49, v211                              // 000000005D60: 0BA7A731
	v_mul_f32_e32 v212, v49, v212                              // 000000005D64: 0BA9A931
	v_mul_f32_e32 v213, v49, v213                              // 000000005D68: 0BABAB31
	v_mul_f32_e32 v214, v49, v214                              // 000000005D6C: 0BADAD31
	v_mul_f32_e32 v215, v49, v215                              // 000000005D70: 0BAFAF31
	s_waitcnt lgkmcnt(0)                                       // 000000005D74: BF8CC07F
	s_barrier                                                  // 000000005D78: BF8A0000
	ds_read_b32 v64, v7 offset:16896                           // 000000005D7C: D86C4200 40000007
	ds_read_b32 v65, v7 offset:16960                           // 000000005D84: D86C4240 41000007
	ds_read_b32 v66, v7 offset:17024                           // 000000005D8C: D86C4280 42000007
	ds_read_b32 v67, v7 offset:17088                           // 000000005D94: D86C42C0 43000007
	ds_read_b32 v68, v7 offset:17152                           // 000000005D9C: D86C4300 44000007
	ds_read_b32 v69, v7 offset:17216                           // 000000005DA4: D86C4340 45000007
	ds_read_b32 v70, v7 offset:17280                           // 000000005DAC: D86C4380 46000007
	ds_read_b32 v71, v7 offset:17344                           // 000000005DB4: D86C43C0 47000007
	ds_read_b32 v72, v7 offset:17408                           // 000000005DBC: D86C4400 48000007
	ds_read_b32 v73, v7 offset:17472                           // 000000005DC4: D86C4440 49000007
	ds_read_b32 v74, v7 offset:17536                           // 000000005DCC: D86C4480 4A000007
	ds_read_b32 v75, v7 offset:17600                           // 000000005DD4: D86C44C0 4B000007
	ds_read_b32 v76, v7 offset:17664                           // 000000005DDC: D86C4500 4C000007
	ds_read_b32 v77, v7 offset:17728                           // 000000005DE4: D86C4540 4D000007
	ds_read_b32 v78, v7 offset:17792                           // 000000005DEC: D86C4580 4E000007
	ds_read_b32 v79, v7 offset:17856                           // 000000005DF4: D86C45C0 4F000007
	v_mul_f32_e32 v176, v44, v176                              // 000000005DFC: 0B61612C
	v_mul_f32_e32 v177, v44, v177                              // 000000005E00: 0B63632C
	v_mul_f32_e32 v178, v44, v178                              // 000000005E04: 0B65652C
	v_mul_f32_e32 v179, v44, v179                              // 000000005E08: 0B67672C
	v_mul_f32_e32 v180, v44, v180                              // 000000005E0C: 0B69692C
	v_mul_f32_e32 v181, v44, v181                              // 000000005E10: 0B6B6B2C
	v_mul_f32_e32 v182, v44, v182                              // 000000005E14: 0B6D6D2C
	v_mul_f32_e32 v183, v44, v183                              // 000000005E18: 0B6F6F2C
	s_waitcnt lgkmcnt(0)                                       // 000000005E1C: BF8CC07F
	v_max3_f32 v48, v64, v65, v48                              // 000000005E20: D1D30030 04C28340
	v_max3_f32 v48, v66, v67, v48                              // 000000005E28: D1D30030 04C28742
	v_max3_f32 v48, v68, v69, v48                              // 000000005E30: D1D30030 04C28B44
	v_max3_f32 v48, v70, v71, v48                              // 000000005E38: D1D30030 04C28F46
	v_max3_f32 v48, v72, v73, v48                              // 000000005E40: D1D30030 04C29348
	v_max3_f32 v48, v74, v75, v48                              // 000000005E48: D1D30030 04C2974A
	v_max3_f32 v48, v76, v77, v48                              // 000000005E50: D1D30030 04C29B4C
	v_max3_f32 v48, v78, v79, v48                              // 000000005E58: D1D30030 04C29F4E
	v_mov_b32_e32 v64, 0xff800000                              // 000000005E60: 7E8002FF FF800000
	v_cmp_eq_u32_e64 s[40:41], v64, v11                        // 000000005E68: D0CA0028 00021740
	s_nop 1                                                    // 000000005E70: BF800001
	v_max_f32_e32 v15, v48, v11                                // 000000005E74: 161E1730
	v_mul_f32_e32 v53, s64, v15                                // 000000005E78: 0A6A1E40
	v_fma_f32 v112, v112, s64, -v53                            // 000000005E7C: D1CB0070 84D48170
	v_fma_f32 v113, v113, s64, -v53                            // 000000005E84: D1CB0071 84D48171
	v_fma_f32 v114, v114, s64, -v53                            // 000000005E8C: D1CB0072 84D48172
	v_fma_f32 v115, v115, s64, -v53                            // 000000005E94: D1CB0073 84D48173
	v_fma_f32 v116, v116, s64, -v53                            // 000000005E9C: D1CB0074 84D48174
	v_fma_f32 v117, v117, s64, -v53                            // 000000005EA4: D1CB0075 84D48175
	v_fma_f32 v118, v118, s64, -v53                            // 000000005EAC: D1CB0076 84D48176
	v_fma_f32 v119, v119, s64, -v53                            // 000000005EB4: D1CB0077 84D48177
	v_fma_f32 v120, v120, s64, -v53                            // 000000005EBC: D1CB0078 84D48178
	v_fma_f32 v121, v121, s64, -v53                            // 000000005EC4: D1CB0079 84D48179
	v_fma_f32 v122, v122, s64, -v53                            // 000000005ECC: D1CB007A 84D4817A
	v_fma_f32 v123, v123, s64, -v53                            // 000000005ED4: D1CB007B 84D4817B
	v_fma_f32 v124, v124, s64, -v53                            // 000000005EDC: D1CB007C 84D4817C
	v_fma_f32 v125, v125, s64, -v53                            // 000000005EE4: D1CB007D 84D4817D
	v_fma_f32 v126, v126, s64, -v53                            // 000000005EEC: D1CB007E 84D4817E
	v_fma_f32 v127, v127, s64, -v53                            // 000000005EF4: D1CB007F 84D4817F
	v_exp_f32_e32 v112, v112                                   // 000000005EFC: 7EE04170
	v_exp_f32_e32 v113, v113                                   // 000000005F00: 7EE24171
	v_exp_f32_e32 v114, v114                                   // 000000005F04: 7EE44172
	v_exp_f32_e32 v115, v115                                   // 000000005F08: 7EE64173
	v_exp_f32_e32 v116, v116                                   // 000000005F0C: 7EE84174
	v_exp_f32_e32 v117, v117                                   // 000000005F10: 7EEA4175
	v_exp_f32_e32 v118, v118                                   // 000000005F14: 7EEC4176
	v_exp_f32_e32 v119, v119                                   // 000000005F18: 7EEE4177
	v_exp_f32_e32 v120, v120                                   // 000000005F1C: 7EF04178
	v_exp_f32_e32 v121, v121                                   // 000000005F20: 7EF24179
	v_exp_f32_e32 v122, v122                                   // 000000005F24: 7EF4417A
	v_exp_f32_e32 v123, v123                                   // 000000005F28: 7EF6417B
	v_exp_f32_e32 v124, v124                                   // 000000005F2C: 7EF8417C
	v_exp_f32_e32 v125, v125                                   // 000000005F30: 7EFA417D
	v_exp_f32_e32 v126, v126                                   // 000000005F34: 7EFC417E
	v_exp_f32_e32 v127, v127                                   // 000000005F38: 7EFE417F
	v_mul_f32_dpp v240, v252, v112 quad_perm:[0,0,0,0] row_mask:0xf bank_mask:0xf// 000000005F3C: 0BE0E0FA FF0000FC
	v_mul_f32_dpp v241, v252, v113 quad_perm:[1,1,1,1] row_mask:0xf bank_mask:0xf// 000000005F44: 0BE2E2FA FF0055FC
	v_mul_f32_dpp v242, v252, v114 quad_perm:[2,2,2,2] row_mask:0xf bank_mask:0xf// 000000005F4C: 0BE4E4FA FF00AAFC
	v_mul_f32_dpp v243, v252, v115 quad_perm:[3,3,3,3] row_mask:0xf bank_mask:0xf// 000000005F54: 0BE6E6FA FF00FFFC
	v_mul_f32_dpp v244, v253, v116 quad_perm:[0,0,0,0] row_mask:0xf bank_mask:0xf// 000000005F5C: 0BE8E8FA FF0000FD
	v_mul_f32_dpp v245, v253, v117 quad_perm:[1,1,1,1] row_mask:0xf bank_mask:0xf// 000000005F64: 0BEAEAFA FF0055FD
	v_mul_f32_dpp v246, v253, v118 quad_perm:[2,2,2,2] row_mask:0xf bank_mask:0xf// 000000005F6C: 0BECECFA FF00AAFD
	v_mul_f32_dpp v247, v253, v119 quad_perm:[3,3,3,3] row_mask:0xf bank_mask:0xf// 000000005F74: 0BEEEEFA FF00FFFD
	v_mul_f32_dpp v248, v254, v120 quad_perm:[0,0,0,0] row_mask:0xf bank_mask:0xf// 000000005F7C: 0BF0F0FA FF0000FE
	v_mul_f32_dpp v249, v254, v121 quad_perm:[1,1,1,1] row_mask:0xf bank_mask:0xf// 000000005F84: 0BF2F2FA FF0055FE
	v_mul_f32_dpp v250, v254, v122 quad_perm:[2,2,2,2] row_mask:0xf bank_mask:0xf// 000000005F8C: 0BF4F4FA FF00AAFE
	v_mul_f32_dpp v251, v254, v123 quad_perm:[3,3,3,3] row_mask:0xf bank_mask:0xf// 000000005F94: 0BF6F6FA FF00FFFE
	v_mul_f32_dpp v252, v255, v124 quad_perm:[0,0,0,0] row_mask:0xf bank_mask:0xf// 000000005F9C: 0BF8F8FA FF0000FF
	v_mul_f32_dpp v253, v255, v125 quad_perm:[1,1,1,1] row_mask:0xf bank_mask:0xf// 000000005FA4: 0BFAFAFA FF0055FF
	v_mul_f32_dpp v254, v255, v126 quad_perm:[2,2,2,2] row_mask:0xf bank_mask:0xf// 000000005FAC: 0BFCFCFA FF00AAFF
	v_mul_f32_dpp v255, v255, v127 quad_perm:[3,3,3,3] row_mask:0xf bank_mask:0xf// 000000005FB4: 0BFEFEFA FF00FFFF
	v_mov_b32_e32 v48, 0x358637bd                              // 000000005FBC: 7E6002FF 358637BD
	v_max3_f32 v48, |v240|, |v241|, v48                        // 000000005FC4: D1D30330 04C3E3F0
	v_max3_f32 v48, |v242|, |v243|, v48                        // 000000005FCC: D1D30330 04C3E7F2
	v_max3_f32 v48, |v244|, |v245|, v48                        // 000000005FD4: D1D30330 04C3EBF4
	v_max3_f32 v48, |v246|, |v247|, v48                        // 000000005FDC: D1D30330 04C3EFF6
	v_max3_f32 v48, |v248|, |v249|, v48                        // 000000005FE4: D1D30330 04C3F3F8
	v_max3_f32 v48, |v250|, |v251|, v48                        // 000000005FEC: D1D30330 04C3F7FA
	v_max3_f32 v48, |v252|, |v253|, v48                        // 000000005FF4: D1D30330 04C3FBFC
	v_max3_f32 v48, |v254|, |v255|, v48                        // 000000005FFC: D1D30330 04C3FFFE
	ds_write_b32 v8, v48 offset:20992                          // 000000006004: D81A5200 00003008
	v_sub_f32_e32 v49, v11, v15                                // 00000000600C: 04621F0B
	v_cndmask_b32_e64 v49, v49, 0, s[40:41]                    // 000000006010: D1000031 00A10131
	v_mov_b32_e32 v11, v15                                     // 000000006018: 7E16030F
	v_mul_f32_e32 v49, s64, v49                                // 00000000601C: 0A626240
	v_exp_f32_e32 v49, v49                                     // 000000006020: 7E624131
	s_waitcnt lgkmcnt(0)                                       // 000000006024: BF8CC07F
	s_barrier                                                  // 000000006028: BF8A0000
	ds_read_b32 v64, v7 offset:20992                           // 00000000602C: D86C5200 40000007
	ds_read_b32 v65, v7 offset:21056                           // 000000006034: D86C5240 41000007
	ds_read_b32 v66, v7 offset:21120                           // 00000000603C: D86C5280 42000007
	ds_read_b32 v67, v7 offset:21184                           // 000000006044: D86C52C0 43000007
	ds_read_b32 v68, v7 offset:21248                           // 00000000604C: D86C5300 44000007
	ds_read_b32 v69, v7 offset:21312                           // 000000006054: D86C5340 45000007
	ds_read_b32 v70, v7 offset:21376                           // 00000000605C: D86C5380 46000007
	ds_read_b32 v71, v7 offset:21440                           // 000000006064: D86C53C0 47000007
	ds_read_b32 v72, v7 offset:21504                           // 00000000606C: D86C5400 48000007
	ds_read_b32 v73, v7 offset:21568                           // 000000006074: D86C5440 49000007
	ds_read_b32 v74, v7 offset:21632                           // 00000000607C: D86C5480 4A000007
	ds_read_b32 v75, v7 offset:21696                           // 000000006084: D86C54C0 4B000007
	ds_read_b32 v76, v7 offset:21760                           // 00000000608C: D86C5500 4C000007
	ds_read_b32 v77, v7 offset:21824                           // 000000006094: D86C5540 4D000007
	ds_read_b32 v78, v7 offset:21888                           // 00000000609C: D86C5580 4E000007
	ds_read_b32 v79, v7 offset:21952                           // 0000000060A4: D86C55C0 4F000007
	v_mul_f32_e32 v38, v49, v38                                // 0000000060AC: 0A4C4D31
	v_mov_b32_e32 v15, v112                                    // 0000000060B0: 7E1E0370
	v_add_f32_e32 v15, v113, v15                               // 0000000060B4: 021E1F71
	v_add_f32_e32 v15, v114, v15                               // 0000000060B8: 021E1F72
	v_add_f32_e32 v15, v115, v15                               // 0000000060BC: 021E1F73
	v_add_f32_e32 v15, v116, v15                               // 0000000060C0: 021E1F74
	v_add_f32_e32 v15, v117, v15                               // 0000000060C4: 021E1F75
	v_add_f32_e32 v15, v118, v15                               // 0000000060C8: 021E1F76
	v_add_f32_e32 v15, v119, v15                               // 0000000060CC: 021E1F77
	v_add_f32_e32 v15, v120, v15                               // 0000000060D0: 021E1F78
	v_add_f32_e32 v15, v121, v15                               // 0000000060D4: 021E1F79
	v_add_f32_e32 v15, v122, v15                               // 0000000060D8: 021E1F7A
	v_add_f32_e32 v15, v123, v15                               // 0000000060DC: 021E1F7B
	v_add_f32_e32 v15, v124, v15                               // 0000000060E0: 021E1F7C
	v_add_f32_e32 v15, v125, v15                               // 0000000060E4: 021E1F7D
	v_add_f32_e32 v15, v126, v15                               // 0000000060E8: 021E1F7E
	v_add_f32_e32 v15, v127, v15                               // 0000000060EC: 021E1F7F
	v_add_f32_e32 v38, v15, v38                                // 0000000060F0: 024C4D0F
	s_waitcnt lgkmcnt(0)                                       // 0000000060F4: BF8CC07F
	v_max3_f32 v48, |v64|, |v65|, v48                          // 0000000060F8: D1D30330 04C28340
	v_max3_f32 v48, |v66|, |v67|, v48                          // 000000006100: D1D30330 04C28742
	v_max3_f32 v48, |v68|, |v69|, v48                          // 000000006108: D1D30330 04C28B44
	v_max3_f32 v48, |v70|, |v71|, v48                          // 000000006110: D1D30330 04C28F46
	v_max3_f32 v48, |v72|, |v73|, v48                          // 000000006118: D1D30330 04C29348
	v_max3_f32 v48, |v74|, |v75|, v48                          // 000000006120: D1D30330 04C2974A
	v_max3_f32 v48, |v76|, |v77|, v48                          // 000000006128: D1D30330 04C29B4C
	v_max3_f32 v48, |v78|, |v79|, v48                          // 000000006130: D1D30330 04C29F4E
	s_nop 2                                                    // 000000006138: BF800002
	v_rcp_f32_e32 v48, v48                                     // 00000000613C: 7E604530
	s_nop 1                                                    // 000000006140: BF800001
	v_mul_f32_e32 v48, 0x43e00000, v48                         // 000000006144: 0A6060FF 43E00000
	v_mul_f32_e32 v112, v48, v240                              // 00000000614C: 0AE1E130
	v_mul_f32_e32 v113, v48, v241                              // 000000006150: 0AE3E330
	v_mul_f32_e32 v114, v48, v242                              // 000000006154: 0AE5E530
	v_mul_f32_e32 v115, v48, v243                              // 000000006158: 0AE7E730
	v_mul_f32_e32 v116, v48, v244                              // 00000000615C: 0AE9E930
	v_mul_f32_e32 v117, v48, v245                              // 000000006160: 0AEBEB30
	v_mul_f32_e32 v118, v48, v246                              // 000000006164: 0AEDED30
	v_mul_f32_e32 v119, v48, v247                              // 000000006168: 0AEFEF30
	v_mul_f32_e32 v120, v48, v248                              // 00000000616C: 0AF1F130
	v_mul_f32_e32 v121, v48, v249                              // 000000006170: 0AF3F330
	v_mul_f32_e32 v122, v48, v250                              // 000000006174: 0AF5F530
	v_mul_f32_e32 v123, v48, v251                              // 000000006178: 0AF7F730
	v_mul_f32_e32 v124, v48, v252                              // 00000000617C: 0AF9F930
	v_mul_f32_e32 v125, v48, v253                              // 000000006180: 0AFBFB30
	v_mul_f32_e32 v126, v48, v254                              // 000000006184: 0AFDFD30
	v_mul_f32_e32 v127, v48, v255                              // 000000006188: 0AFFFF30
	v_cvt_pk_fp8_f32 v112, v112, v113                          // 00000000618C: D2A20070 0002E370
	v_cvt_pk_fp8_f32 v112, v114, v115 op_sel:[0,0,1]           // 000000006194: D2A24070 0002E772
	v_cvt_pk_fp8_f32 v113, v116, v117                          // 00000000619C: D2A20071 0002EB74
	v_cvt_pk_fp8_f32 v113, v118, v119 op_sel:[0,0,1]           // 0000000061A4: D2A24071 0002EF76
	v_cvt_pk_fp8_f32 v114, v120, v121                          // 0000000061AC: D2A20072 0002F378
	v_cvt_pk_fp8_f32 v114, v122, v123 op_sel:[0,0,1]           // 0000000061B4: D2A24072 0002F77A
	v_cvt_pk_fp8_f32 v115, v124, v125                          // 0000000061BC: D2A20073 0002FB7C
	v_cvt_pk_fp8_f32 v115, v126, v127 op_sel:[0,0,1]           // 0000000061C4: D2A24073 0002FF7E
	ds_write_b32 v10, v112 offset:25088                        // 0000000061CC: D81A6200 0000700A
	ds_write_b32 v10, v113 offset:26112                        // 0000000061D4: D81A6600 0000710A
	ds_write_b32 v10, v114 offset:27136                        // 0000000061DC: D81A6A00 0000720A
	ds_write_b32 v10, v115 offset:28160                        // 0000000061E4: D81A6E00 0000730A
	v_add_f32_e32 v208, v208, v176                             // 0000000061EC: 03A161D0
	v_add_f32_e32 v209, v209, v177                             // 0000000061F0: 03A363D1
	v_add_f32_e32 v210, v210, v178                             // 0000000061F4: 03A565D2
	v_add_f32_e32 v211, v211, v179                             // 0000000061F8: 03A767D3
	v_add_f32_e32 v212, v212, v180                             // 0000000061FC: 03A969D4
	v_add_f32_e32 v213, v213, v181                             // 000000006200: 03AB6BD5
	v_add_f32_e32 v214, v214, v182                             // 000000006204: 03AD6DD6
	v_add_f32_e32 v215, v215, v183                             // 000000006208: 03AF6FD7
	v_rcp_f32_e32 v44, v48                                     // 00000000620C: 7E584530
	s_waitcnt lgkmcnt(0)                                       // 000000006210: BF8CC07F
	s_barrier                                                  // 000000006214: BF8A0000
	ds_read_b64 v[112:113], v9 offset:25088                    // 000000006218: D8EC6200 70000009
	ds_read_b64 v[114:115], v9 offset:25216                    // 000000006220: D8EC6280 72000009
	ds_read_b64 v[116:117], v9 offset:26112                    // 000000006228: D8EC6600 74000009
	ds_read_b64 v[118:119], v9 offset:26240                    // 000000006230: D8EC6680 76000009
	ds_read_b64 v[120:121], v9 offset:27136                    // 000000006238: D8EC6A00 78000009
	ds_read_b64 v[122:123], v9 offset:27264                    // 000000006240: D8EC6A80 7A000009
	ds_read_b64 v[124:125], v9 offset:28160                    // 000000006248: D8EC6E00 7C000009
	ds_read_b64 v[126:127], v9 offset:28288                    // 000000006250: D8EC6E80 7E000009
	s_waitcnt vmcnt(0)                                         // 000000006258: BF8C0F70
	s_barrier                                                  // 00000000625C: BF8A0000
	s_waitcnt lgkmcnt(7)                                       // 000000006260: BF8CC77F
	v_mfma_f32_16x16x32_fp8_fp8 v[176:179], a[96:97], v[112:113], 0// 000000006264: D3F300B0 0A02E160
	s_waitcnt lgkmcnt(6)                                       // 00000000626C: BF8CC67F
	v_mfma_f32_16x16x32_fp8_fp8 v[176:179], a[98:99], v[114:115], v[176:179]// 000000006270: D3F300B0 0EC2E562
	s_waitcnt lgkmcnt(5)                                       // 000000006278: BF8CC57F
	v_mfma_f32_16x16x32_fp8_fp8 v[176:179], a[100:101], v[116:117], v[176:179]// 00000000627C: D3F300B0 0EC2E964
	s_waitcnt lgkmcnt(4)                                       // 000000006284: BF8CC47F
	v_mfma_f32_16x16x32_fp8_fp8 v[176:179], a[102:103], v[118:119], v[176:179]// 000000006288: D3F300B0 0EC2ED66
	s_waitcnt lgkmcnt(3)                                       // 000000006290: BF8CC37F
	v_mfma_f32_16x16x32_fp8_fp8 v[176:179], a[104:105], v[120:121], v[176:179]// 000000006294: D3F300B0 0EC2F168
	s_waitcnt lgkmcnt(2)                                       // 00000000629C: BF8CC27F
	v_mfma_f32_16x16x32_fp8_fp8 v[176:179], a[106:107], v[122:123], v[176:179]// 0000000062A0: D3F300B0 0EC2F56A
	s_waitcnt lgkmcnt(1)                                       // 0000000062A8: BF8CC17F
	v_mfma_f32_16x16x32_fp8_fp8 v[176:179], a[108:109], v[124:125], v[176:179]// 0000000062AC: D3F300B0 0EC2F96C
	s_waitcnt lgkmcnt(0)                                       // 0000000062B4: BF8CC07F
	v_mfma_f32_16x16x32_fp8_fp8 v[176:179], a[110:111], v[126:127], v[176:179]// 0000000062B8: D3F300B0 0EC2FD6E
	v_mfma_f32_16x16x32_fp8_fp8 v[180:183], a[112:113], v[112:113], 0// 0000000062C0: D3F300B4 0A02E170
	v_mfma_f32_16x16x32_fp8_fp8 v[180:183], a[114:115], v[114:115], v[180:183]// 0000000062C8: D3F300B4 0ED2E572
	v_mfma_f32_16x16x32_fp8_fp8 v[180:183], a[116:117], v[116:117], v[180:183]// 0000000062D0: D3F300B4 0ED2E974
	v_mfma_f32_16x16x32_fp8_fp8 v[180:183], a[118:119], v[118:119], v[180:183]// 0000000062D8: D3F300B4 0ED2ED76
	v_mfma_f32_16x16x32_fp8_fp8 v[180:183], a[120:121], v[120:121], v[180:183]// 0000000062E0: D3F300B4 0ED2F178
	v_mfma_f32_16x16x32_fp8_fp8 v[180:183], a[122:123], v[122:123], v[180:183]// 0000000062E8: D3F300B4 0ED2F57A
	v_mfma_f32_16x16x32_fp8_fp8 v[180:183], a[124:125], v[124:125], v[180:183]// 0000000062F0: D3F300B4 0ED2F97C
	v_mfma_f32_16x16x32_fp8_fp8 v[180:183], a[126:127], v[126:127], v[180:183]// 0000000062F8: D3F300B4 0ED2FD7E
	s_nop 4                                                    // 000000006300: BF800004
	s_branch label_1042                                        // 000000006304: BF820000

0000000000006308 <label_1042>:
	v_mul_f32_e32 v208, v49, v208                              // 000000006308: 0BA1A131
	v_mul_f32_e32 v209, v49, v209                              // 00000000630C: 0BA3A331
	v_mul_f32_e32 v210, v49, v210                              // 000000006310: 0BA5A531
	v_mul_f32_e32 v211, v49, v211                              // 000000006314: 0BA7A731
	v_mul_f32_e32 v212, v49, v212                              // 000000006318: 0BA9A931
	v_mul_f32_e32 v213, v49, v213                              // 00000000631C: 0BABAB31
	v_mul_f32_e32 v214, v49, v214                              // 000000006320: 0BADAD31
	v_mul_f32_e32 v215, v49, v215                              // 000000006324: 0BAFAF31
	v_mul_f32_e32 v176, v44, v176                              // 000000006328: 0B61612C
	v_mul_f32_e32 v177, v44, v177                              // 00000000632C: 0B63632C
	v_mul_f32_e32 v178, v44, v178                              // 000000006330: 0B65652C
	v_mul_f32_e32 v179, v44, v179                              // 000000006334: 0B67672C
	v_mul_f32_e32 v180, v44, v180                              // 000000006338: 0B69692C
	v_mul_f32_e32 v181, v44, v181                              // 00000000633C: 0B6B6B2C
	v_mul_f32_e32 v182, v44, v182                              // 000000006340: 0B6D6D2C
	v_mul_f32_e32 v183, v44, v183                              // 000000006344: 0B6F6F2C
	v_add_f32_e32 v208, v208, v176                             // 000000006348: 03A161D0
	v_add_f32_e32 v209, v209, v177                             // 00000000634C: 03A363D1
	v_add_f32_e32 v210, v210, v178                             // 000000006350: 03A565D2
	v_add_f32_e32 v211, v211, v179                             // 000000006354: 03A767D3
	v_add_f32_e32 v212, v212, v180                             // 000000006358: 03A969D4
	v_add_f32_e32 v213, v213, v181                             // 00000000635C: 03AB6BD5
	v_add_f32_e32 v214, v214, v182                             // 000000006360: 03AD6DD6
	v_add_f32_e32 v215, v215, v183                             // 000000006364: 03AF6FD7
	ds_write_b32 v8, v38 offset:16896                          // 000000006368: D81A4200 00002608
	s_waitcnt lgkmcnt(0)                                       // 000000006370: BF8CC07F
	s_barrier                                                  // 000000006374: BF8A0000
	ds_read_b32 v64, v7 offset:16896                           // 000000006378: D86C4200 40000007
	ds_read_b32 v65, v7 offset:16960                           // 000000006380: D86C4240 41000007
	ds_read_b32 v66, v7 offset:17024                           // 000000006388: D86C4280 42000007
	ds_read_b32 v67, v7 offset:17088                           // 000000006390: D86C42C0 43000007
	ds_read_b32 v68, v7 offset:17152                           // 000000006398: D86C4300 44000007
	ds_read_b32 v69, v7 offset:17216                           // 0000000063A0: D86C4340 45000007
	ds_read_b32 v70, v7 offset:17280                           // 0000000063A8: D86C4380 46000007
	ds_read_b32 v71, v7 offset:17344                           // 0000000063B0: D86C43C0 47000007
	ds_read_b32 v72, v7 offset:17408                           // 0000000063B8: D86C4400 48000007
	ds_read_b32 v73, v7 offset:17472                           // 0000000063C0: D86C4440 49000007
	ds_read_b32 v74, v7 offset:17536                           // 0000000063C8: D86C4480 4A000007
	ds_read_b32 v75, v7 offset:17600                           // 0000000063D0: D86C44C0 4B000007
	ds_read_b32 v76, v7 offset:17664                           // 0000000063D8: D86C4500 4C000007
	ds_read_b32 v77, v7 offset:17728                           // 0000000063E0: D86C4540 4D000007
	ds_read_b32 v78, v7 offset:17792                           // 0000000063E8: D86C4580 4E000007
	ds_read_b32 v79, v7 offset:17856                           // 0000000063F0: D86C45C0 4F000007
	s_waitcnt lgkmcnt(0)                                       // 0000000063F8: BF8CC07F
	v_mov_b32_e32 v38, 0                                       // 0000000063FC: 7E4C0280
	v_add_f32_e32 v38, v64, v38                                // 000000006400: 024C4D40
	v_add_f32_e32 v38, v65, v38                                // 000000006404: 024C4D41
	v_add_f32_e32 v38, v66, v38                                // 000000006408: 024C4D42
	v_add_f32_e32 v38, v67, v38                                // 00000000640C: 024C4D43
	v_add_f32_e32 v38, v68, v38                                // 000000006410: 024C4D44
	v_add_f32_e32 v38, v69, v38                                // 000000006414: 024C4D45
	v_add_f32_e32 v38, v70, v38                                // 000000006418: 024C4D46
	v_add_f32_e32 v38, v71, v38                                // 00000000641C: 024C4D47
	v_add_f32_e32 v38, v72, v38                                // 000000006420: 024C4D48
	v_add_f32_e32 v38, v73, v38                                // 000000006424: 024C4D49
	v_add_f32_e32 v38, v74, v38                                // 000000006428: 024C4D4A
	v_add_f32_e32 v38, v75, v38                                // 00000000642C: 024C4D4B
	v_add_f32_e32 v38, v76, v38                                // 000000006430: 024C4D4C
	v_add_f32_e32 v38, v77, v38                                // 000000006434: 024C4D4D
	v_add_f32_e32 v38, v78, v38                                // 000000006438: 024C4D4E
	v_add_f32_e32 v38, v79, v38                                // 00000000643C: 024C4D4F
	s_nop 1                                                    // 000000006440: BF800001
	v_rcp_f32_e32 v38, v38                                     // 000000006444: 7E4C4526
	s_nop 1                                                    // 000000006448: BF800001
	v_mul_f32_e32 v208, v38, v208                              // 00000000644C: 0BA1A126
	v_mul_f32_e32 v209, v38, v209                              // 000000006450: 0BA3A326
	v_mul_f32_e32 v210, v38, v210                              // 000000006454: 0BA5A526
	v_mul_f32_e32 v211, v38, v211                              // 000000006458: 0BA7A726
	v_mul_f32_e32 v212, v38, v212                              // 00000000645C: 0BA9A926
	v_mul_f32_e32 v213, v38, v213                              // 000000006460: 0BABAB26
	v_mul_f32_e32 v214, v38, v214                              // 000000006464: 0BADAD26
	v_mul_f32_e32 v215, v38, v215                              // 000000006468: 0BAFAF26
	v_mov_b32_e32 v19, 0xffff0000                              // 00000000646C: 7E2602FF FFFF0000
	v_mov_b32_e32 v20, 0x7fff0000                              // 000000006474: 7E2802FF 7FFF0000
	v_mov_b32_e32 v21, 0x7fff                                  // 00000000647C: 7E2A02FF 00007FFF
	v_cmp_u_f32_e64 s[40:41], v208, v208                       // 000000006484: D0480028 0003A1D0
	v_add3_u32 v18, v208, v21, 1                               // 00000000648C: D1FF0012 02062BD0
	v_cndmask_b32_e64 v64, v18, v20, s[40:41]                  // 000000006494: D1000040 00A22912
	v_cmp_u_f32_e64 s[40:41], v209, v209                       // 00000000649C: D0480028 0003A3D1
	v_add3_u32 v18, v209, v21, 1                               // 0000000064A4: D1FF0012 02062BD1
	v_cndmask_b32_e64 v65, v18, v20, s[40:41]                  // 0000000064AC: D1000041 00A22912
	v_perm_b32 v208, v65, v64, s52                             // 0000000064B4: D1ED00D0 00D28141
	v_cmp_u_f32_e64 s[40:41], v210, v210                       // 0000000064BC: D0480028 0003A5D2
	v_add3_u32 v18, v210, v21, 1                               // 0000000064C4: D1FF0012 02062BD2
	v_cndmask_b32_e64 v64, v18, v20, s[40:41]                  // 0000000064CC: D1000040 00A22912
	v_cmp_u_f32_e64 s[40:41], v211, v211                       // 0000000064D4: D0480028 0003A7D3
	v_add3_u32 v18, v211, v21, 1                               // 0000000064DC: D1FF0012 02062BD3
	v_cndmask_b32_e64 v65, v18, v20, s[40:41]                  // 0000000064E4: D1000041 00A22912
	v_perm_b32 v209, v65, v64, s52                             // 0000000064EC: D1ED00D1 00D28141
	v_cmp_u_f32_e64 s[40:41], v212, v212                       // 0000000064F4: D0480028 0003A9D4
	v_add3_u32 v18, v212, v21, 1                               // 0000000064FC: D1FF0012 02062BD4
	v_cndmask_b32_e64 v64, v18, v20, s[40:41]                  // 000000006504: D1000040 00A22912
	v_cmp_u_f32_e64 s[40:41], v213, v213                       // 00000000650C: D0480028 0003ABD5
	v_add3_u32 v18, v213, v21, 1                               // 000000006514: D1FF0012 02062BD5
	v_cndmask_b32_e64 v65, v18, v20, s[40:41]                  // 00000000651C: D1000041 00A22912
	v_perm_b32 v210, v65, v64, s52                             // 000000006524: D1ED00D2 00D28141
	v_cmp_u_f32_e64 s[40:41], v214, v214                       // 00000000652C: D0480028 0003ADD6
	v_add3_u32 v18, v214, v21, 1                               // 000000006534: D1FF0012 02062BD6
	v_cndmask_b32_e64 v64, v18, v20, s[40:41]                  // 00000000653C: D1000040 00A22912
	v_cmp_u_f32_e64 s[40:41], v215, v215                       // 000000006544: D0480028 0003AFD7
	v_add3_u32 v18, v215, v21, 1                               // 00000000654C: D1FF0012 02062BD7
	v_cndmask_b32_e64 v65, v18, v20, s[40:41]                  // 000000006554: D1000041 00A22912
	v_perm_b32 v211, v65, v64, s52                             // 00000000655C: D1ED00D3 00D28141
	s_nop 1                                                    // 000000006564: BF800001
	v_lshrrev_b32_e32 v64, 4, v0                               // 000000006568: 20800084
	v_mul_i32_i24_e32 v68, 34, v64                             // 00000000656C: 0C8880A2
	v_and_b32_e32 v64, 15, v0                                  // 000000006570: 2680008F
	v_mul_i32_i24_e32 v65, 2, v64                              // 000000006574: 0C828082
	v_add_u32_e32 v68, v65, v68                                // 000000006578: 68888941
	s_mul_i32 s60, s7, 0x88                                    // 00000000657C: 923CFF07 00000088
	v_add_u32_e32 v68, s60, v68                                // 000000006584: 6888883C
	v_lshlrev_b32_e32 v68, 2, v68                              // 000000006588: 24888882
	ds_write_b64 v68, v[208:209] offset:41472                  // 00000000658C: D89AA200 0000D044
	ds_write_b64 v68, v[210:211] offset:43648                  // 000000006594: D89AAA80 0000D244
	v_lshrrev_b32_e32 v64, 1, v0                               // 00000000659C: 20800081
	v_mul_i32_i24_e32 v68, 34, v64                             // 0000000065A0: 0C8880A2
	v_and_b32_e32 v65, 1, v0                                   // 0000000065A4: 26820081
	v_add_u32_e32 v68, v65, v68                                // 0000000065A8: 68888941
	s_mul_i32 s60, s7, 2                                       // 0000000065AC: 923C8207
	v_add_u32_e32 v68, s60, v68                                // 0000000065B0: 6888883C
	v_lshlrev_b32_e32 v68, 2, v68                              // 0000000065B4: 24888882
	s_waitcnt lgkmcnt(0)                                       // 0000000065B8: BF8CC07F
	s_barrier                                                  // 0000000065BC: BF8A0000
	ds_read_b32 v208, v68 offset:41472                         // 0000000065C0: D86CA200 D0000044
	ds_read_b32 v209, v68 offset:41504                         // 0000000065C8: D86CA220 D1000044
	ds_read_b32 v210, v68 offset:41536                         // 0000000065D0: D86CA240 D2000044
	ds_read_b32 v211, v68 offset:41568                         // 0000000065D8: D86CA260 D3000044
	s_mul_i32 s60, s7, 0x100                                   // 0000000065E0: 923CFF07 00000100
	v_lshlrev_b32_e32 v64, 2, v0                               // 0000000065E8: 24800082
	v_add_u32_e64 v64, v64, s60                                // 0000000065EC: D1340040 00007940
	s_waitcnt lgkmcnt(0)                                       // 0000000065F4: BF8CC07F
	buffer_store_dword v208, v64, s[8:11], 0 offen             // 0000000065F8: E0701000 8002D040
	buffer_store_dword v209, v64, s[8:11], 0 offen offset:1024 // 000000006600: E0701400 8002D140
	buffer_store_dword v210, v64, s[8:11], 0 offen offset:2048 // 000000006608: E0701800 8002D240
	buffer_store_dword v211, v64, s[8:11], 0 offen offset:3072 // 000000006610: E0701C00 8002D340
	s_add_u32 s8, s75, s8                                      // 000000006618: 8008084B
	s_addc_u32 s9, 0, s9                                       // 00000000661C: 82090980
	s_branch label_2F63                                        // 000000006620: BF821E5A

0000000000006624 <label_1109>:
	s_mul_i32 s60, s3, s65                                     // 000000006624: 923C4103
	s_mul_i32 s60, s60, 4                                      // 000000006628: 923C843C
	s_add_u32 s24, s60, s24                                    // 00000000662C: 8018183C
	s_addc_u32 s25, 0, s25                                     // 000000006630: 82191980
	s_mov_b32 s56, 64                                          // 000000006634: BEB800C0
	s_add_u32 s73, s72, 15                                     // 000000006638: 80498F48
	s_lshr_b32 s73, s73, 4                                     // 00000000663C: 8F498449
	s_mul_i32 s60, s73, 4                                      // 000000006640: 923C8449
	s_mov_b32 s26, s60                                         // 000000006644: BE9A003C
	v_and_b32_e32 v65, 3, v0                                   // 000000006648: 26820083
	v_cmp_eq_u32_e64 s[60:61], 0, v65                          // 00000000664C: D0CA003C 00028280
	v_and_b32_e32 v64, 12, v0                                  // 000000006654: 2680008C
	v_add_u32_e32 v1, s7, v64                                  // 000000006658: 68028007
	v_cndmask_b32_e64 v1, 0, v1, s[60:61]                      // 00000000665C: D1000001 00F20280
	v_and_b32_e32 v65, 3, v0                                   // 000000006664: 26820083
	v_cmp_eq_u32_e64 s[60:61], 1, v65                          // 000000006668: D0CA003C 00028281
	v_lshrrev_b32_e32 v64, 4, v0                               // 000000006670: 20800084
	v_and_b32_e32 v65, 12, v0                                  // 000000006674: 2682008C
	v_add_u32_e32 v64, v65, v64                                // 000000006678: 68808141
	v_cndmask_b32_e64 v64, 0, v64, s[60:61]                    // 00000000667C: D1000040 00F28080
	v_add_u32_e32 v1, v1, v64                                  // 000000006684: 68028101
	v_lshlrev_b32_e32 v1, 2, v1                                // 000000006688: 24020282
	buffer_load_dword v16, v1, s[24:27], 0 offen               // 00000000668C: E0501000 80061001
	v_add_u32_e32 v1, s56, v1                                  // 000000006694: 68020238
	buffer_load_dword v17, v1, s[24:27], 0 offen               // 000000006698: E0501000 80061101
	s_cmp_le_u32 s73, 32                                       // 0000000066A0: BF0BA049
	s_cselect_b32 s56, 0, s56                                  // 0000000066A4: 85383880
	s_mul_i32 s60, s2, s67                                     // 0000000066A8: 923C4302
	s_mul_i32 s61, s84, s74                                    // 0000000066AC: 923D4A54
	s_add_u32 s60, s60, s61                                    // 0000000066B0: 803C3D3C
	s_add_u32 s12, s60, s12                                    // 0000000066B4: 800C0C3C
	s_addc_u32 s13, 0, s13                                     // 0000000066B8: 820D0D80
	s_mul_i32 s60, s7, 0x108                                   // 0000000066BC: 923CFF07 00000108
	s_add_u32 m0, 0, s60                                       // 0000000066C4: 807C3C80
	s_mul_i32 s60, s7, 0x100                                   // 0000000066C8: 923CFF07 00000100
	v_lshlrev_b32_e32 v64, 2, v0                               // 0000000066D0: 24800082
	v_add_u32_e64 v64, v64, s60                                // 0000000066D4: D1340040 00007940
	v_add_u32_e32 v65, 0x400, v64                              // 0000000066DC: 688280FF 00000400
	v_add_u32_e32 v66, 0x800, v64                              // 0000000066E4: 688480FF 00000800
	v_add_u32_e32 v67, 0xc00, v64                              // 0000000066EC: 688680FF 00000C00
	buffer_load_dword v64, s[12:15], 0 offen lds               // 0000000066F4: E0511000 80030040
	s_mul_i32 s60, 4, 0x108                                    // 0000000066FC: 923CFF84 00000108
	s_add_u32 m0, m0, s60                                      // 000000006704: 807C3C7C
	buffer_load_dword v65, s[12:15], 0 offen lds               // 000000006708: E0511000 80030041
	s_mul_i32 s60, 4, 0x108                                    // 000000006710: 923CFF84 00000108
	s_add_u32 m0, m0, s60                                      // 000000006718: 807C3C7C
	buffer_load_dword v66, s[12:15], 0 offen lds               // 00000000671C: E0511000 80030042
	s_mul_i32 s60, 4, 0x108                                    // 000000006724: 923CFF84 00000108
	s_add_u32 m0, m0, s60                                      // 00000000672C: 807C3C7C
	buffer_load_dword v67, s[12:15], 0 offen lds               // 000000006730: E0511000 80030043
	s_mul_i32 s60, 4, 0x108                                    // 000000006738: 923CFF84 00000108
	s_add_u32 m0, m0, s60                                      // 000000006740: 807C3C7C
	s_add_u32 s12, s74, s12                                    // 000000006744: 800C0C4A
	s_addc_u32 s13, 0, s13                                     // 000000006748: 820D0D80
	buffer_load_dword v64, s[12:15], 0 offen lds               // 00000000674C: E0511000 80030040
	s_mul_i32 s60, 4, 0x108                                    // 000000006754: 923CFF84 00000108
	s_add_u32 m0, m0, s60                                      // 00000000675C: 807C3C7C
	buffer_load_dword v65, s[12:15], 0 offen lds               // 000000006760: E0511000 80030041
	s_mul_i32 s60, 4, 0x108                                    // 000000006768: 923CFF84 00000108
	s_add_u32 m0, m0, s60                                      // 000000006770: 807C3C7C
	buffer_load_dword v66, s[12:15], 0 offen lds               // 000000006774: E0511000 80030042
	s_mul_i32 s60, 4, 0x108                                    // 00000000677C: 923CFF84 00000108
	s_add_u32 m0, m0, s60                                      // 000000006784: 807C3C7C
	buffer_load_dword v67, s[12:15], 0 offen lds               // 000000006788: E0511000 80030043
	s_mul_i32 s60, 4, 0x108                                    // 000000006790: 923CFF84 00000108
	s_add_u32 m0, m0, s60                                      // 000000006798: 807C3C7C
	s_add_u32 s12, s74, s12                                    // 00000000679C: 800C0C4A
	s_addc_u32 s13, 0, s13                                     // 0000000067A0: 820D0D80
	v_lshrrev_b32_e32 v64, 4, v0                               // 0000000067A4: 20800084
	v_lshlrev_b32_e32 v64, 2, v64                              // 0000000067A8: 24808082
	v_and_b32_e32 v65, 3, v0                                   // 0000000067AC: 26820083
	v_add_u32_e32 v64, v65, v64                                // 0000000067B0: 68808141
	v_lshlrev_b32_e32 v59, 2, v64                              // 0000000067B4: 24768082
	v_mov_b32_e32 v60, v59                                     // 0000000067B8: 7E78033B
	s_mul_i32 s60, s2, 64                                      // 0000000067BC: 923CC002
	s_add_u32 s32, s60, s32                                    // 0000000067C0: 8020203C
	s_addc_u32 s33, 0, s33                                     // 0000000067C4: 82212180
	s_add_u32 s36, s60, s36                                    // 0000000067C8: 8024243C
	s_addc_u32 s37, 0, s37                                     // 0000000067CC: 82252580
	s_mul_i32 s60, s2, s76                                     // 0000000067D0: 923C4C02
	s_mul_i32 s61, s84, s75                                    // 0000000067D4: 923D4B54
	s_add_u32 s60, s60, s61                                    // 0000000067D8: 803C3D3C
	s_add_u32 s8, s60, s8                                      // 0000000067DC: 8008083C
	s_addc_u32 s9, 0, s9                                       // 0000000067E0: 82090980
	s_mov_b32 s70, 0                                           // 0000000067E4: BEC60080
	s_and_b32 s71, s72, 0xffffff00                             // 0000000067E8: 8647FF48 FFFFFF00
	s_mov_b32 s42, 0xff00ff00                                  // 0000000067F0: BEAA00FF FF00FF00
	s_mov_b32 s43, 0xff00ff00                                  // 0000000067F8: BEAB00FF FF00FF00
	s_mov_b32 s44, 0xf0f0f0f0                                  // 000000006800: BEAC00FF F0F0F0F0
	s_mov_b32 s45, 0xf0f0f0f0                                  // 000000006808: BEAD00FF F0F0F0F0
	s_mov_b32 s78, 0xff00ff                                    // 000000006810: BECE00FF 00FF00FF
	s_mov_b32 s79, 0xff00ff                                    // 000000006818: BECF00FF 00FF00FF
	v_mul_i32_i24_e64 v63, 64, s66                             // 000000006820: D106003F 000084C0
	v_mov_b32_e32 v54, s68                                     // 000000006828: 7E6C0244
	s_mov_b32 s52, 0x7060302                                   // 00000000682C: BEB400FF 07060302
	s_mov_b32 s53, 0x400                                       // 000000006834: BEB500FF 00000400
	s_mov_b32 s54, 0x40100                                     // 00000000683C: BEB600FF 00040100
	s_mov_b32 s55, 0x4020100                                   // 000000006844: BEB700FF 04020100
	s_mov_b32 s6, 0x3fb8aa3b                                   // 00000000684C: BE8600FF 3FB8AA3B
	v_mov_b32_e32 v11, 0xff800000                              // 000000006854: 7E1602FF FF800000
	v_mov_b32_e32 v12, 0xff800000                              // 00000000685C: 7E1802FF FF800000
	v_mov_b32_e32 v49, 0                                       // 000000006864: 7E620280
	v_mov_b32_e32 v50, 0                                       // 000000006868: 7E640280
	v_mov_b32_e32 v38, 0                                       // 00000000686C: 7E4C0280
	v_mov_b32_e32 v39, 0                                       // 000000006870: 7E4E0280
	v_mov_b32_e32 v44, 0                                       // 000000006874: 7E580280
	v_mov_b32_e32 v45, 0                                       // 000000006878: 7E5A0280
	v_add_u32_e32 v1, s56, v1                                  // 00000000687C: 68020238
	v_and_b32_e32 v7, 15, v0                                   // 000000006880: 260E008F
	v_lshlrev_b32_e32 v7, 2, v7                                // 000000006884: 240E0E82
	v_lshlrev_b32_e32 v8, 2, v0                                // 000000006888: 24100082
	s_mul_i32 s60, 0x100, s7                                   // 00000000688C: 923C07FF 00000100
	v_add_u32_e32 v8, s60, v8                                  // 000000006894: 6810103C
	v_lshrrev_b32_e32 v64, 4, v0                               // 000000006898: 20800084
	v_lshlrev_b32_e32 v65, 6, v64                              // 00000000689C: 24828086
	v_and_b32_e32 v64, 15, v0                                  // 0000000068A0: 2680008F
	v_lshlrev_b32_e32 v64, 1, v64                              // 0000000068A4: 24808081
	v_add_u32_e32 v65, v64, v65                                // 0000000068A8: 68828340
	v_lshlrev_b32_e32 v9, 2, v65                               // 0000000068AC: 24128282
	v_lshrrev_b32_e32 v64, 5, v0                               // 0000000068B0: 20800085
	v_lshlrev_b32_e32 v65, 5, v64                              // 0000000068B4: 24828085
	v_and_b32_e32 v64, 31, v0                                  // 0000000068B8: 2680009F
	v_lshrrev_b32_e32 v66, 4, v64                              // 0000000068BC: 20848084
	v_add_u32_e32 v65, v66, v65                                // 0000000068C0: 68828342
	v_and_b32_e32 v64, 15, v0                                  // 0000000068C4: 2680008F
	v_lshlrev_b32_e32 v64, 1, v64                              // 0000000068C8: 24808081
	v_add_u32_e32 v65, v64, v65                                // 0000000068CC: 68828340
	v_lshlrev_b32_e32 v64, 2, v65                              // 0000000068D0: 24808282
	s_mul_i32 s60, 0x100, s7                                   // 0000000068D4: 923C07FF 00000100
	v_add_u32_e64 v10, v64, s60                                // 0000000068DC: D134000A 00007940
	v_lshlrev_b32_e32 v5, 4, v0                                // 0000000068E4: 240A0084
	s_mul_i32 s60, s2, s69                                     // 0000000068E8: 923C4502
	s_add_u32 s16, s60, s16                                    // 0000000068EC: 8010103C
	s_addc_u32 s17, 0, s17                                     // 0000000068F0: 82111180
	v_and_b32_e32 v64, 15, v0                                  // 0000000068F4: 2680008F
	v_lshlrev_b32_e32 v6, 4, v64                               // 0000000068F8: 240C8084
	s_mul_i32 s61, s2, s69                                     // 0000000068FC: 923D4502
	s_mul_i32 s60, s7, 0x100                                   // 000000006900: 923CFF07 00000100
	s_add_u32 s60, s60, s61                                    // 000000006908: 803C3D3C
	s_add_u32 s20, s60, s20                                    // 00000000690C: 8014143C
	s_addc_u32 s21, 0, s21                                     // 000000006910: 82151580
	s_waitcnt vmcnt(4)                                         // 000000006914: BF8C0F74
	v_mul_u32_u24_dpp v64, v16, v54 row_newbcast:0 row_mask:0xf bank_mask:0xf// 000000006918: 10806CFA FF015010
	v_mul_u32_u24_dpp v65, v16, v54 row_newbcast:4 row_mask:0xf bank_mask:0xf// 000000006920: 10826CFA FF015410
	v_mul_u32_u24_dpp v66, v16, v54 row_newbcast:8 row_mask:0xf bank_mask:0xf// 000000006928: 10846CFA FF015810
	v_mul_u32_u24_dpp v67, v16, v54 row_newbcast:12 row_mask:0xf bank_mask:0xf// 000000006930: 10866CFA FF015C10
	v_add_u32_e32 v22, v64, v5                                 // 000000006938: 682C0B40
	v_add_u32_e32 v23, v65, v5                                 // 00000000693C: 682E0B41
	v_add_u32_e32 v24, v66, v5                                 // 000000006940: 68300B42
	v_add_u32_e32 v25, v67, v5                                 // 000000006944: 68320B43
	v_mul_u32_u24_dpp v64, v16, v54 row_newbcast:1 row_mask:0xf bank_mask:0xf// 000000006948: 10806CFA FF015110
	v_mul_u32_u24_dpp v65, v16, v54 row_newbcast:5 row_mask:0xf bank_mask:0xf// 000000006950: 10826CFA FF015510
	v_mul_u32_u24_dpp v66, v16, v54 row_newbcast:9 row_mask:0xf bank_mask:0xf// 000000006958: 10846CFA FF015910
	v_mul_u32_u24_dpp v67, v16, v54 row_newbcast:13 row_mask:0xf bank_mask:0xf// 000000006960: 10866CFA FF015D10
	v_add_u32_e32 v30, v64, v6                                 // 000000006968: 683C0D40
	v_add_u32_e32 v31, v65, v6                                 // 00000000696C: 683E0D41
	v_add_u32_e32 v32, v66, v6                                 // 000000006970: 68400D42
	v_add_u32_e32 v33, v67, v6                                 // 000000006974: 68420D43
	v_mul_u32_u24_dpp v64, v16, v63 quad_perm:[0,0,0,0] row_mask:0xf bank_mask:0xf// 000000006978: 10807EFA FF000010
	v_add_u32_e32 v2, v64, v59                                 // 000000006980: 68047740
	v_mul_u32_u24_dpp v64, v16, v63 quad_perm:[0,0,0,0] row_mask:0xf bank_mask:0xf// 000000006984: 10807EFA FF000010
	v_add_u32_e32 v55, v64, v60                                // 00000000698C: 686E7940
	buffer_load_dword v42, v2, s[32:35], 0 offen               // 000000006990: E0501000 80082A02
	buffer_load_dwordx4 a[0:3], v22, s[16:19], 0 offen         // 000000006998: E05C1000 80840016
	buffer_load_dwordx4 a[4:7], v22, s[16:19], 0 offen offset:1024// 0000000069A0: E05C1400 80840416
	buffer_load_dwordx4 a[8:11], v23, s[16:19], 0 offen        // 0000000069A8: E05C1000 80840817
	buffer_load_dwordx4 a[12:15], v23, s[16:19], 0 offen offset:1024// 0000000069B0: E05C1400 80840C17
	buffer_load_dwordx4 a[16:19], v24, s[16:19], 0 offen       // 0000000069B8: E05C1000 80841018
	buffer_load_dwordx4 a[20:23], v24, s[16:19], 0 offen offset:1024// 0000000069C0: E05C1400 80841418
	buffer_load_dwordx4 a[24:27], v25, s[16:19], 0 offen       // 0000000069C8: E05C1000 80841819
	buffer_load_dwordx4 a[28:31], v25, s[16:19], 0 offen offset:1024// 0000000069D0: E05C1400 80841C19
	buffer_load_dword v57, v55, s[36:39], 0 offen              // 0000000069D8: E0501000 80093937
	buffer_load_dwordx4 a[64:67], v30, s[20:23], 0 offen       // 0000000069E0: E05C1000 8085401E
	buffer_load_dwordx4 a[68:71], v31, s[20:23], 0 offen       // 0000000069E8: E05C1000 8085441F
	buffer_load_dwordx4 a[72:75], v32, s[20:23], 0 offen       // 0000000069F0: E05C1000 80854820
	buffer_load_dwordx4 a[76:79], v33, s[20:23], 0 offen       // 0000000069F8: E05C1000 80854C21
	buffer_load_dwordx4 a[80:83], v30, s[20:23], 0 offen offset:1024// 000000006A00: E05C1400 8085501E
	buffer_load_dwordx4 a[84:87], v31, s[20:23], 0 offen offset:1024// 000000006A08: E05C1400 8085541F
	buffer_load_dwordx4 a[88:91], v32, s[20:23], 0 offen offset:1024// 000000006A10: E05C1400 80855820
	buffer_load_dwordx4 a[92:95], v33, s[20:23], 0 offen offset:1024// 000000006A18: E05C1400 80855C21
	v_lshrrev_b32_e32 v64, 4, v0                               // 000000006A20: 20800084
	v_lshlrev_b32_e32 v65, 1, v64                              // 000000006A24: 24828081
	v_and_b32_e32 v64, 15, v0                                  // 000000006A28: 2680008F
	v_mul_i32_i24_e32 v64, 0x42, v64                           // 000000006A2C: 0C8080FF 00000042
	v_add_u32_e32 v65, v64, v65                                // 000000006A34: 68828340
	v_lshlrev_b32_e32 v4, 2, v65                               // 000000006A38: 24088282
	s_mul_i32 s60, s7, 32                                      // 000000006A3C: 923CA007
	v_add_u32_e32 v4, s60, v4                                  // 000000006A40: 6808083C
	s_waitcnt vmcnt(16) lgkmcnt(0)                             // 000000006A44: BF8C4070
	s_barrier                                                  // 000000006A48: BF8A0000
	ds_read_b64 v[80:81], v4                                   // 000000006A4C: D8EC0000 50000004
	ds_read_b64 v[84:85], v4 offset:128                        // 000000006A54: D8EC0080 54000004
	s_waitcnt lgkmcnt(0)                                       // 000000006A5C: BF8CC07F
	v_and_b32_e32 v83, 0xffff0000, v81                         // 000000006A60: 26A6A2FF FFFF0000
	v_lshlrev_b32_e32 v82, 16, v81                             // 000000006A68: 24A4A290
	v_and_b32_e32 v81, 0xffff0000, v80                         // 000000006A6C: 26A2A0FF FFFF0000
	v_lshlrev_b32_e32 v80, 16, v80                             // 000000006A74: 24A0A090
	v_and_b32_e32 v87, 0xffff0000, v85                         // 000000006A78: 26AEAAFF FFFF0000
	v_lshlrev_b32_e32 v86, 16, v85                             // 000000006A80: 24ACAA90
	v_and_b32_e32 v85, 0xffff0000, v84                         // 000000006A84: 26AAA8FF FFFF0000
	v_lshlrev_b32_e32 v84, 16, v84                             // 000000006A8C: 24A8A890
	v_mov_b32_e32 v48, 0x358637bd                              // 000000006A90: 7E6002FF 358637BD
	v_max3_f32 v48, |v80|, |v81|, v48                          // 000000006A98: D1D30330 04C2A350
	v_max3_f32 v48, |v82|, |v83|, v48                          // 000000006AA0: D1D30330 04C2A752
	v_max3_f32 v48, |v84|, |v85|, v48                          // 000000006AA8: D1D30330 04C2AB54
	v_max3_f32 v48, |v86|, |v87|, v48                          // 000000006AB0: D1D30330 04C2AF56
	ds_write_b32 v8, v48 offset:16896                          // 000000006AB8: D81A4200 00003008
	s_waitcnt lgkmcnt(0)                                       // 000000006AC0: BF8CC07F
	s_barrier                                                  // 000000006AC4: BF8A0000
	ds_read_b32 v64, v7 offset:16896                           // 000000006AC8: D86C4200 40000007
	ds_read_b32 v65, v7 offset:16960                           // 000000006AD0: D86C4240 41000007
	ds_read_b32 v66, v7 offset:17024                           // 000000006AD8: D86C4280 42000007
	ds_read_b32 v67, v7 offset:17088                           // 000000006AE0: D86C42C0 43000007
	ds_read_b32 v68, v7 offset:17152                           // 000000006AE8: D86C4300 44000007
	ds_read_b32 v69, v7 offset:17216                           // 000000006AF0: D86C4340 45000007
	ds_read_b32 v70, v7 offset:17280                           // 000000006AF8: D86C4380 46000007
	ds_read_b32 v71, v7 offset:17344                           // 000000006B00: D86C43C0 47000007
	ds_read_b32 v72, v7 offset:17408                           // 000000006B08: D86C4400 48000007
	ds_read_b32 v73, v7 offset:17472                           // 000000006B10: D86C4440 49000007
	ds_read_b32 v74, v7 offset:17536                           // 000000006B18: D86C4480 4A000007
	ds_read_b32 v75, v7 offset:17600                           // 000000006B20: D86C44C0 4B000007
	ds_read_b32 v76, v7 offset:17664                           // 000000006B28: D86C4500 4C000007
	ds_read_b32 v77, v7 offset:17728                           // 000000006B30: D86C4540 4D000007
	ds_read_b32 v78, v7 offset:17792                           // 000000006B38: D86C4580 4E000007
	ds_read_b32 v79, v7 offset:17856                           // 000000006B40: D86C45C0 4F000007
	s_waitcnt lgkmcnt(0)                                       // 000000006B48: BF8CC07F
	v_max3_f32 v48, |v64|, |v65|, v48                          // 000000006B4C: D1D30330 04C28340
	v_max3_f32 v48, |v66|, |v67|, v48                          // 000000006B54: D1D30330 04C28742
	v_max3_f32 v48, |v68|, |v69|, v48                          // 000000006B5C: D1D30330 04C28B44
	v_max3_f32 v48, |v70|, |v71|, v48                          // 000000006B64: D1D30330 04C28F46
	v_max3_f32 v48, |v72|, |v73|, v48                          // 000000006B6C: D1D30330 04C29348
	v_max3_f32 v48, |v74|, |v75|, v48                          // 000000006B74: D1D30330 04C2974A
	v_max3_f32 v48, |v76|, |v77|, v48                          // 000000006B7C: D1D30330 04C29B4C
	v_max3_f32 v48, |v78|, |v79|, v48                          // 000000006B84: D1D30330 04C29F4E
	v_rcp_f32_e32 v48, v48                                     // 000000006B8C: 7E604530
	s_nop 1                                                    // 000000006B90: BF800001
	v_mul_f32_e32 v48, 0x43e00000, v48                         // 000000006B94: 0A6060FF 43E00000
	v_mul_f32_e32 v80, v48, v80                                // 000000006B9C: 0AA0A130
	v_mul_f32_e32 v81, v48, v81                                // 000000006BA0: 0AA2A330
	v_mul_f32_e32 v82, v48, v82                                // 000000006BA4: 0AA4A530
	v_mul_f32_e32 v83, v48, v83                                // 000000006BA8: 0AA6A730
	v_mul_f32_e32 v84, v48, v84                                // 000000006BAC: 0AA8A930
	v_mul_f32_e32 v85, v48, v85                                // 000000006BB0: 0AAAAB30
	v_mul_f32_e32 v86, v48, v86                                // 000000006BB4: 0AACAD30
	v_mul_f32_e32 v87, v48, v87                                // 000000006BB8: 0AAEAF30
	v_rcp_f32_e32 v18, v48                                     // 000000006BBC: 7E244530
	v_cvt_pk_fp8_f32 v80, v80, v81                             // 000000006BC0: D2A20050 0002A350
	v_cvt_pk_fp8_f32 v80, v82, v83 op_sel:[0,0,1]              // 000000006BC8: D2A24050 0002A752
	v_cvt_pk_fp8_f32 v81, v84, v85                             // 000000006BD0: D2A20051 0002AB54
	v_cvt_pk_fp8_f32 v81, v86, v87 op_sel:[0,0,1]              // 000000006BD8: D2A24051 0002AF56
	ds_write_b32 v10, v80 offset:25088                         // 000000006BE0: D81A6200 0000500A
	ds_write_b32 v10, v81 offset:26112                         // 000000006BE8: D81A6600 0000510A
	s_waitcnt lgkmcnt(0)                                       // 000000006BF0: BF8CC07F
	s_barrier                                                  // 000000006BF4: BF8A0000
	ds_read_b64 v[80:81], v9 offset:25088                      // 000000006BF8: D8EC6200 50000009
	ds_read_b64 v[82:83], v9 offset:25216                      // 000000006C00: D8EC6280 52000009
	ds_read_b64 v[84:85], v9 offset:26112                      // 000000006C08: D8EC6600 54000009
	ds_read_b64 v[86:87], v9 offset:26240                      // 000000006C10: D8EC6680 56000009
	v_mov_b32_e32 v208, 0                                      // 000000006C18: 7FA00280
	v_mov_b32_e32 v209, 0                                      // 000000006C1C: 7FA20280
	v_mov_b32_e32 v210, 0                                      // 000000006C20: 7FA40280
	v_mov_b32_e32 v211, 0                                      // 000000006C24: 7FA60280
	v_mov_b32_e32 v212, 0                                      // 000000006C28: 7FA80280
	v_mov_b32_e32 v213, 0                                      // 000000006C2C: 7FAA0280
	v_mov_b32_e32 v214, 0                                      // 000000006C30: 7FAC0280
	v_mov_b32_e32 v215, 0                                      // 000000006C34: 7FAE0280
	v_mov_b32_e32 v176, 0                                      // 000000006C38: 7F600280
	v_mov_b32_e32 v177, 0                                      // 000000006C3C: 7F620280
	v_mov_b32_e32 v178, 0                                      // 000000006C40: 7F640280
	v_mov_b32_e32 v179, 0                                      // 000000006C44: 7F660280
	v_mov_b32_e32 v180, 0                                      // 000000006C48: 7F680280
	v_mov_b32_e32 v181, 0                                      // 000000006C4C: 7F6A0280
	v_mov_b32_e32 v182, 0                                      // 000000006C50: 7F6C0280
	v_mov_b32_e32 v183, 0                                      // 000000006C54: 7F6E0280
	ds_read_b64 v[88:89], v4 offset:4224                       // 000000006C58: D8EC1080 58000004
	ds_read_b64 v[92:93], v4 offset:4352                       // 000000006C60: D8EC1100 5C000004
	s_waitcnt lgkmcnt(0)                                       // 000000006C68: BF8CC07F
	v_and_b32_e32 v91, 0xffff0000, v89                         // 000000006C6C: 26B6B2FF FFFF0000
	v_lshlrev_b32_e32 v90, 16, v89                             // 000000006C74: 24B4B290
	v_and_b32_e32 v89, 0xffff0000, v88                         // 000000006C78: 26B2B0FF FFFF0000
	v_lshlrev_b32_e32 v88, 16, v88                             // 000000006C80: 24B0B090
	v_and_b32_e32 v95, 0xffff0000, v93                         // 000000006C84: 26BEBAFF FFFF0000
	v_lshlrev_b32_e32 v94, 16, v93                             // 000000006C8C: 24BCBA90
	v_and_b32_e32 v93, 0xffff0000, v92                         // 000000006C90: 26BAB8FF FFFF0000
	v_lshlrev_b32_e32 v92, 16, v92                             // 000000006C98: 24B8B890
	v_mov_b32_e32 v48, 0x358637bd                              // 000000006C9C: 7E6002FF 358637BD
	v_max3_f32 v48, |v88|, |v89|, v48                          // 000000006CA4: D1D30330 04C2B358
	v_max3_f32 v48, |v90|, |v91|, v48                          // 000000006CAC: D1D30330 04C2B75A
	v_max3_f32 v48, |v92|, |v93|, v48                          // 000000006CB4: D1D30330 04C2BB5C
	v_max3_f32 v48, |v94|, |v95|, v48                          // 000000006CBC: D1D30330 04C2BF5E
	ds_write_b32 v8, v48 offset:16896                          // 000000006CC4: D81A4200 00003008
	s_waitcnt lgkmcnt(0)                                       // 000000006CCC: BF8CC07F
	s_barrier                                                  // 000000006CD0: BF8A0000
	ds_read_b32 v64, v7 offset:16896                           // 000000006CD4: D86C4200 40000007
	ds_read_b32 v65, v7 offset:16960                           // 000000006CDC: D86C4240 41000007
	ds_read_b32 v66, v7 offset:17024                           // 000000006CE4: D86C4280 42000007
	ds_read_b32 v67, v7 offset:17088                           // 000000006CEC: D86C42C0 43000007
	ds_read_b32 v68, v7 offset:17152                           // 000000006CF4: D86C4300 44000007
	ds_read_b32 v69, v7 offset:17216                           // 000000006CFC: D86C4340 45000007
	ds_read_b32 v70, v7 offset:17280                           // 000000006D04: D86C4380 46000007
	ds_read_b32 v71, v7 offset:17344                           // 000000006D0C: D86C43C0 47000007
	ds_read_b32 v72, v7 offset:17408                           // 000000006D14: D86C4400 48000007
	ds_read_b32 v73, v7 offset:17472                           // 000000006D1C: D86C4440 49000007
	ds_read_b32 v74, v7 offset:17536                           // 000000006D24: D86C4480 4A000007
	ds_read_b32 v75, v7 offset:17600                           // 000000006D2C: D86C44C0 4B000007
	ds_read_b32 v76, v7 offset:17664                           // 000000006D34: D86C4500 4C000007
	ds_read_b32 v77, v7 offset:17728                           // 000000006D3C: D86C4540 4D000007
	ds_read_b32 v78, v7 offset:17792                           // 000000006D44: D86C4580 4E000007
	ds_read_b32 v79, v7 offset:17856                           // 000000006D4C: D86C45C0 4F000007
	s_waitcnt lgkmcnt(0)                                       // 000000006D54: BF8CC07F
	v_max3_f32 v48, |v64|, |v65|, v48                          // 000000006D58: D1D30330 04C28340
	v_max3_f32 v48, |v66|, |v67|, v48                          // 000000006D60: D1D30330 04C28742
	v_max3_f32 v48, |v68|, |v69|, v48                          // 000000006D68: D1D30330 04C28B44
	v_max3_f32 v48, |v70|, |v71|, v48                          // 000000006D70: D1D30330 04C28F46
	v_max3_f32 v48, |v72|, |v73|, v48                          // 000000006D78: D1D30330 04C29348
	v_max3_f32 v48, |v74|, |v75|, v48                          // 000000006D80: D1D30330 04C2974A
	v_max3_f32 v48, |v76|, |v77|, v48                          // 000000006D88: D1D30330 04C29B4C
	v_max3_f32 v48, |v78|, |v79|, v48                          // 000000006D90: D1D30330 04C29F4E
	v_rcp_f32_e32 v48, v48                                     // 000000006D98: 7E604530
	s_nop 1                                                    // 000000006D9C: BF800001
	v_mul_f32_e32 v48, 0x43e00000, v48                         // 000000006DA0: 0A6060FF 43E00000
	v_mul_f32_e32 v88, v48, v88                                // 000000006DA8: 0AB0B130
	v_mul_f32_e32 v89, v48, v89                                // 000000006DAC: 0AB2B330
	v_mul_f32_e32 v90, v48, v90                                // 000000006DB0: 0AB4B530
	v_mul_f32_e32 v91, v48, v91                                // 000000006DB4: 0AB6B730
	v_mul_f32_e32 v92, v48, v92                                // 000000006DB8: 0AB8B930
	v_mul_f32_e32 v93, v48, v93                                // 000000006DBC: 0ABABB30
	v_mul_f32_e32 v94, v48, v94                                // 000000006DC0: 0ABCBD30
	v_mul_f32_e32 v95, v48, v95                                // 000000006DC4: 0ABEBF30
	v_rcp_f32_e32 v19, v48                                     // 000000006DC8: 7E264530
	v_cvt_pk_fp8_f32 v88, v88, v89                             // 000000006DCC: D2A20058 0002B358
	v_cvt_pk_fp8_f32 v88, v90, v91 op_sel:[0,0,1]              // 000000006DD4: D2A24058 0002B75A
	v_cvt_pk_fp8_f32 v89, v92, v93                             // 000000006DDC: D2A20059 0002BB5C
	v_cvt_pk_fp8_f32 v89, v94, v95 op_sel:[0,0,1]              // 000000006DE4: D2A24059 0002BF5E
	ds_write_b32 v10, v88 offset:25088                         // 000000006DEC: D81A6200 0000580A
	ds_write_b32 v10, v89 offset:26112                         // 000000006DF4: D81A6600 0000590A
	s_waitcnt lgkmcnt(0)                                       // 000000006DFC: BF8CC07F
	s_barrier                                                  // 000000006E00: BF8A0000
	ds_read_b64 v[88:89], v9 offset:25088                      // 000000006E04: D8EC6200 58000009
	ds_read_b64 v[90:91], v9 offset:25216                      // 000000006E0C: D8EC6280 5A000009
	ds_read_b64 v[92:93], v9 offset:26112                      // 000000006E14: D8EC6600 5C000009
	ds_read_b64 v[94:95], v9 offset:26240                      // 000000006E1C: D8EC6680 5E000009
	v_mov_b32_e32 v216, 0                                      // 000000006E24: 7FB00280
	v_mov_b32_e32 v217, 0                                      // 000000006E28: 7FB20280
	v_mov_b32_e32 v218, 0                                      // 000000006E2C: 7FB40280
	v_mov_b32_e32 v219, 0                                      // 000000006E30: 7FB60280
	v_mov_b32_e32 v220, 0                                      // 000000006E34: 7FB80280
	v_mov_b32_e32 v221, 0                                      // 000000006E38: 7FBA0280
	v_mov_b32_e32 v222, 0                                      // 000000006E3C: 7FBC0280
	v_mov_b32_e32 v223, 0                                      // 000000006E40: 7FBE0280
	v_mov_b32_e32 v184, 0                                      // 000000006E44: 7F700280
	v_mov_b32_e32 v185, 0                                      // 000000006E48: 7F720280
	v_mov_b32_e32 v186, 0                                      // 000000006E4C: 7F740280
	v_mov_b32_e32 v187, 0                                      // 000000006E50: 7F760280
	v_mov_b32_e32 v188, 0                                      // 000000006E54: 7F780280
	v_mov_b32_e32 v189, 0                                      // 000000006E58: 7F7A0280
	v_mov_b32_e32 v190, 0                                      // 000000006E5C: 7F7C0280
	v_mov_b32_e32 v191, 0                                      // 000000006E60: 7F7E0280
	s_waitcnt vmcnt(8) lgkmcnt(0)                              // 000000006E64: BF8C0078
	s_barrier                                                  // 000000006E68: BF8A0000
	s_cmp_lt_u32 s73, 16                                       // 000000006E6C: BF0A9049
	s_cbranch_scc1 label_241C                                  // 000000006E70: BF8510FF
	s_cmp_lt_i32 s7, 2                                         // 000000006E74: BF048207
	s_cbranch_scc0 label_1B9F                                  // 000000006E78: BF840880

0000000000006e7c <label_131F>:
	s_waitcnt vmcnt(8) lgkmcnt(0)                              // 000000006E7C: BF8C0078
	v_mul_u32_u24_dpp v64, v17, v54 row_newbcast:0 row_mask:0xf bank_mask:0xf// 000000006E80: 10806CFA FF015011
	v_mul_u32_u24_dpp v65, v17, v54 row_newbcast:4 row_mask:0xf bank_mask:0xf// 000000006E88: 10826CFA FF015411
	v_mul_u32_u24_dpp v66, v17, v54 row_newbcast:8 row_mask:0xf bank_mask:0xf// 000000006E90: 10846CFA FF015811
	v_mul_u32_u24_dpp v67, v17, v54 row_newbcast:12 row_mask:0xf bank_mask:0xf// 000000006E98: 10866CFA FF015C11
	v_add_u32_e32 v26, v64, v5                                 // 000000006EA0: 68340B40
	v_add_u32_e32 v27, v65, v5                                 // 000000006EA4: 68360B41
	v_add_u32_e32 v28, v66, v5                                 // 000000006EA8: 68380B42
	v_add_u32_e32 v29, v67, v5                                 // 000000006EAC: 683A0B43
	v_mul_u32_u24_dpp v64, v17, v63 quad_perm:[0,0,0,0] row_mask:0xf bank_mask:0xf// 000000006EB0: 10807EFA FF000011
	v_add_u32_e32 v3, v64, v59                                 // 000000006EB8: 68067740
	v_mul_u32_u24_dpp v64, v17, v63 quad_perm:[0,0,0,0] row_mask:0xf bank_mask:0xf// 000000006EBC: 10807EFA FF000011
	v_add_u32_e32 v56, v64, v60                                // 000000006EC4: 68707940
	v_mfma_f32_16x16x32_fp8_fp8 v[112:115], a[0:1], v[80:81], 0// 000000006EC8: D3F30070 0A02A100
	v_mfma_f32_16x16x32_fp8_fp8 v[112:115], a[2:3], v[82:83], v[112:115]// 000000006ED0: D3F30070 0DC2A502
	buffer_load_dwordx4 a[32:35], v26, s[16:19], 0 offen       // 000000006ED8: E05C1000 8084201A
	v_mfma_f32_16x16x32_fp8_fp8 v[112:115], a[4:5], v[84:85], v[112:115]// 000000006EE0: D3F30070 0DC2A904
	v_mfma_f32_16x16x32_fp8_fp8 v[112:115], a[6:7], v[86:87], v[112:115]// 000000006EE8: D3F30070 0DC2AD06
	buffer_load_dword v16, v1, s[24:27], 0 offen               // 000000006EF0: E0501000 80061001
	v_mfma_f32_16x16x32_fp8_fp8 v[116:119], a[8:9], v[80:81], 0// 000000006EF8: D3F30074 0A02A108
	v_mfma_f32_16x16x32_fp8_fp8 v[116:119], a[10:11], v[82:83], v[116:119]// 000000006F00: D3F30074 0DD2A50A
	buffer_load_dwordx4 a[36:39], v26, s[16:19], 0 offen offset:1024// 000000006F08: E05C1400 8084241A
	v_mfma_f32_16x16x32_fp8_fp8 v[116:119], a[12:13], v[84:85], v[116:119]// 000000006F10: D3F30074 0DD2A90C
	v_mfma_f32_16x16x32_fp8_fp8 v[116:119], a[14:15], v[86:87], v[116:119]// 000000006F18: D3F30074 0DD2AD0E
	v_mfma_f32_16x16x32_fp8_fp8 v[120:123], a[16:17], v[80:81], 0// 000000006F20: D3F30078 0A02A110
	v_mfma_f32_16x16x32_fp8_fp8 v[120:123], a[18:19], v[82:83], v[120:123]// 000000006F28: D3F30078 0DE2A512
	buffer_load_dwordx4 a[40:43], v27, s[16:19], 0 offen       // 000000006F30: E05C1000 8084281B
	v_mfma_f32_16x16x32_fp8_fp8 v[120:123], a[20:21], v[84:85], v[120:123]// 000000006F38: D3F30078 0DE2A914
	v_mfma_f32_16x16x32_fp8_fp8 v[120:123], a[22:23], v[86:87], v[120:123]// 000000006F40: D3F30078 0DE2AD16
	v_mfma_f32_16x16x32_fp8_fp8 v[124:127], a[24:25], v[80:81], 0// 000000006F48: D3F3007C 0A02A118
	v_mfma_f32_16x16x32_fp8_fp8 v[124:127], a[26:27], v[82:83], v[124:127]// 000000006F50: D3F3007C 0DF2A51A
	buffer_load_dwordx4 a[44:47], v27, s[16:19], 0 offen offset:1024// 000000006F58: E05C1400 80842C1B
	v_mfma_f32_16x16x32_fp8_fp8 v[124:127], a[28:29], v[84:85], v[124:127]// 000000006F60: D3F3007C 0DF2A91C
	v_mfma_f32_16x16x32_fp8_fp8 v[124:127], a[30:31], v[86:87], v[124:127]// 000000006F68: D3F3007C 0DF2AD1E
	v_mfma_f32_16x16x32_fp8_fp8 v[128:131], a[0:1], v[88:89], 0// 000000006F70: D3F30080 0A02B100
	v_mfma_f32_16x16x32_fp8_fp8 v[128:131], a[2:3], v[90:91], v[128:131]// 000000006F78: D3F30080 0E02B502
	v_mfma_f32_16x16x32_fp8_fp8 v[128:131], a[4:5], v[92:93], v[128:131]// 000000006F80: D3F30080 0E02B904
	v_mfma_f32_16x16x32_fp8_fp8 v[128:131], a[6:7], v[94:95], v[128:131]// 000000006F88: D3F30080 0E02BD06
	v_mfma_f32_16x16x32_fp8_fp8 v[132:135], a[8:9], v[88:89], 0// 000000006F90: D3F30084 0A02B108
	v_mfma_f32_16x16x32_fp8_fp8 v[132:135], a[10:11], v[90:91], v[132:135]// 000000006F98: D3F30084 0E12B50A
	v_mfma_f32_16x16x32_fp8_fp8 v[132:135], a[12:13], v[92:93], v[132:135]// 000000006FA0: D3F30084 0E12B90C
	v_mfma_f32_16x16x32_fp8_fp8 v[132:135], a[14:15], v[94:95], v[132:135]// 000000006FA8: D3F30084 0E12BD0E
	v_mfma_f32_16x16x32_fp8_fp8 v[136:139], a[16:17], v[88:89], 0// 000000006FB0: D3F30088 0A02B110
	v_mfma_f32_16x16x32_fp8_fp8 v[136:139], a[18:19], v[90:91], v[136:139]// 000000006FB8: D3F30088 0E22B512
	v_mfma_f32_16x16x32_fp8_fp8 v[136:139], a[20:21], v[92:93], v[136:139]// 000000006FC0: D3F30088 0E22B914
	v_mfma_f32_16x16x32_fp8_fp8 v[136:139], a[22:23], v[94:95], v[136:139]// 000000006FC8: D3F30088 0E22BD16
	v_mfma_f32_16x16x32_fp8_fp8 v[140:143], a[24:25], v[88:89], 0// 000000006FD0: D3F3008C 0A02B118
	v_mfma_f32_16x16x32_fp8_fp8 v[140:143], a[26:27], v[90:91], v[140:143]// 000000006FD8: D3F3008C 0E32B51A
	v_mfma_f32_16x16x32_fp8_fp8 v[140:143], a[28:29], v[92:93], v[140:143]// 000000006FE0: D3F3008C 0E32B91C
	v_mfma_f32_16x16x32_fp8_fp8 v[140:143], a[30:31], v[94:95], v[140:143]// 000000006FE8: D3F3008C 0E32BD1E
	buffer_load_dword v43, v3, s[32:35], 0 offen               // 000000006FF0: E0501000 80082B03
	v_mov_b32_dpp v64, v42 row_shr:4 row_mask:0xf bank_mask:0xf// 000000006FF8: 7E8002FA FF01142A
	v_mov_b32_dpp v65, v42 row_shl:4 row_mask:0xf bank_mask:0xf// 000000007000: 7E8202FA FF01042A
	v_cndmask_b32_e64 v248, v42, v64, s[44:45]                 // 000000007008: D10000F8 00B2812A
	v_cndmask_b32_e64 v249, v65, v42, s[44:45]                 // 000000007010: D10000F9 00B25541
	v_mov_b32_dpp v64, v248 row_shr:8 row_mask:0xf bank_mask:0xf// 000000007018: 7E8002FA FF0118F8
	v_mov_b32_dpp v65, v248 row_shl:8 row_mask:0xf bank_mask:0xf// 000000007020: 7E8202FA FF0108F8
	v_mov_b32_dpp v66, v249 row_shr:8 row_mask:0xf bank_mask:0xf// 000000007028: 7E8402FA FF0118F9
	v_mov_b32_dpp v67, v249 row_shl:8 row_mask:0xf bank_mask:0xf// 000000007030: 7E8602FA FF0108F9
	v_mov_b32_e32 v68, v248                                    // 000000007038: 7E8803F8
	v_mov_b32_e32 v69, v249                                    // 00000000703C: 7E8A03F9
	v_cndmask_b32_e64 v248, v68, v64, s[42:43]                 // 000000007040: D10000F8 00AA8144
	v_cndmask_b32_e64 v250, v68, v65, s[78:79]                 // 000000007048: D10000FA 013A8344
	v_cndmask_b32_e64 v249, v69, v66, s[42:43]                 // 000000007050: D10000F9 00AA8545
	v_cndmask_b32_e64 v251, v69, v67, s[78:79]                 // 000000007058: D10000FB 013A8745
	v_mov_b32_dpp v64, v57 row_shr:4 row_mask:0xf bank_mask:0xf// 000000007060: 7E8002FA FF011439
	v_mov_b32_dpp v65, v57 row_shl:4 row_mask:0xf bank_mask:0xf// 000000007068: 7E8202FA FF010439
	v_cndmask_b32_e64 v252, v57, v64, s[44:45]                 // 000000007070: D10000FC 00B28139
	v_cndmask_b32_e64 v253, v65, v57, s[44:45]                 // 000000007078: D10000FD 00B27341
	v_mov_b32_dpp v64, v252 row_shr:8 row_mask:0xf bank_mask:0xf// 000000007080: 7E8002FA FF0118FC
	v_mov_b32_dpp v65, v252 row_shl:8 row_mask:0xf bank_mask:0xf// 000000007088: 7E8202FA FF0108FC
	v_mov_b32_dpp v66, v253 row_shr:8 row_mask:0xf bank_mask:0xf// 000000007090: 7E8402FA FF0118FD
	v_mov_b32_dpp v67, v253 row_shl:8 row_mask:0xf bank_mask:0xf// 000000007098: 7E8602FA FF0108FD
	v_mov_b32_e32 v68, v252                                    // 0000000070A0: 7E8803FC
	v_mov_b32_e32 v69, v253                                    // 0000000070A4: 7E8A03FD
	v_cndmask_b32_e64 v252, v68, v64, s[42:43]                 // 0000000070A8: D10000FC 00AA8144
	v_cndmask_b32_e64 v254, v68, v65, s[78:79]                 // 0000000070B0: D10000FE 013A8344
	v_cndmask_b32_e64 v253, v69, v66, s[42:43]                 // 0000000070B8: D10000FD 00AA8545
	v_cndmask_b32_e64 v255, v69, v67, s[78:79]                 // 0000000070C0: D10000FF 013A8745
	buffer_load_dword v58, v56, s[36:39], 0 offen              // 0000000070C8: E0501000 80093A38
	v_mul_f32_e32 v112, v18, v112                              // 0000000070D0: 0AE0E112
	v_mul_f32_e32 v113, v18, v113                              // 0000000070D4: 0AE2E312
	v_mul_f32_e32 v114, v18, v114                              // 0000000070D8: 0AE4E512
	v_mul_f32_e32 v115, v18, v115                              // 0000000070DC: 0AE6E712
	v_mul_f32_e32 v116, v18, v116                              // 0000000070E0: 0AE8E912
	v_mul_f32_e32 v117, v18, v117                              // 0000000070E4: 0AEAEB12
	v_mul_f32_e32 v118, v18, v118                              // 0000000070E8: 0AECED12
	v_mul_f32_e32 v119, v18, v119                              // 0000000070EC: 0AEEEF12
	v_mul_f32_e32 v120, v18, v120                              // 0000000070F0: 0AF0F112
	v_mul_f32_e32 v121, v18, v121                              // 0000000070F4: 0AF2F312
	v_mul_f32_e32 v122, v18, v122                              // 0000000070F8: 0AF4F512
	v_mul_f32_e32 v123, v18, v123                              // 0000000070FC: 0AF6F712
	v_mul_f32_e32 v124, v18, v124                              // 000000007100: 0AF8F912
	v_mul_f32_e32 v125, v18, v125                              // 000000007104: 0AFAFB12
	v_mul_f32_e32 v126, v18, v126                              // 000000007108: 0AFCFD12
	v_mul_f32_e32 v127, v18, v127                              // 00000000710C: 0AFEFF12
	buffer_load_dwordx4 a[48:51], v28, s[16:19], 0 offen       // 000000007110: E05C1000 8084301C
	v_mul_f32_dpp v112, v248, v112 quad_perm:[0,0,0,0] row_mask:0xf bank_mask:0xf// 000000007118: 0AE0E0FA FF0000F8
	v_mul_f32_dpp v113, v248, v113 quad_perm:[1,1,1,1] row_mask:0xf bank_mask:0xf// 000000007120: 0AE2E2FA FF0055F8
	v_mul_f32_dpp v114, v248, v114 quad_perm:[2,2,2,2] row_mask:0xf bank_mask:0xf// 000000007128: 0AE4E4FA FF00AAF8
	v_mul_f32_dpp v115, v248, v115 quad_perm:[3,3,3,3] row_mask:0xf bank_mask:0xf// 000000007130: 0AE6E6FA FF00FFF8
	v_mul_f32_dpp v116, v249, v116 quad_perm:[0,0,0,0] row_mask:0xf bank_mask:0xf// 000000007138: 0AE8E8FA FF0000F9
	v_mul_f32_dpp v117, v249, v117 quad_perm:[1,1,1,1] row_mask:0xf bank_mask:0xf// 000000007140: 0AEAEAFA FF0055F9
	v_mul_f32_dpp v118, v249, v118 quad_perm:[2,2,2,2] row_mask:0xf bank_mask:0xf// 000000007148: 0AECECFA FF00AAF9
	v_mul_f32_dpp v119, v249, v119 quad_perm:[3,3,3,3] row_mask:0xf bank_mask:0xf// 000000007150: 0AEEEEFA FF00FFF9
	v_mul_f32_dpp v120, v250, v120 quad_perm:[0,0,0,0] row_mask:0xf bank_mask:0xf// 000000007158: 0AF0F0FA FF0000FA
	v_mul_f32_dpp v121, v250, v121 quad_perm:[1,1,1,1] row_mask:0xf bank_mask:0xf// 000000007160: 0AF2F2FA FF0055FA
	v_mul_f32_dpp v122, v250, v122 quad_perm:[2,2,2,2] row_mask:0xf bank_mask:0xf// 000000007168: 0AF4F4FA FF00AAFA
	v_mul_f32_dpp v123, v250, v123 quad_perm:[3,3,3,3] row_mask:0xf bank_mask:0xf// 000000007170: 0AF6F6FA FF00FFFA
	v_mul_f32_dpp v124, v251, v124 quad_perm:[0,0,0,0] row_mask:0xf bank_mask:0xf// 000000007178: 0AF8F8FA FF0000FB
	v_mul_f32_dpp v125, v251, v125 quad_perm:[1,1,1,1] row_mask:0xf bank_mask:0xf// 000000007180: 0AFAFAFA FF0055FB
	v_mul_f32_dpp v126, v251, v126 quad_perm:[2,2,2,2] row_mask:0xf bank_mask:0xf// 000000007188: 0AFCFCFA FF00AAFB
	v_mul_f32_dpp v127, v251, v127 quad_perm:[3,3,3,3] row_mask:0xf bank_mask:0xf// 000000007190: 0AFEFEFA FF00FFFB
	buffer_load_dwordx4 a[52:55], v28, s[16:19], 0 offen offset:1024// 000000007198: E05C1400 8084341C
	v_mov_b32_e32 v48, v112                                    // 0000000071A0: 7E600370
	v_max3_f32 v48, v112, v113, v48                            // 0000000071A4: D1D30030 04C2E370
	v_max3_f32 v48, v114, v115, v48                            // 0000000071AC: D1D30030 04C2E772
	v_max3_f32 v48, v116, v117, v48                            // 0000000071B4: D1D30030 04C2EB74
	v_max3_f32 v48, v118, v119, v48                            // 0000000071BC: D1D30030 04C2EF76
	v_max3_f32 v48, v120, v121, v48                            // 0000000071C4: D1D30030 04C2F378
	v_max3_f32 v48, v122, v123, v48                            // 0000000071CC: D1D30030 04C2F77A
	v_max3_f32 v48, v124, v125, v48                            // 0000000071D4: D1D30030 04C2FB7C
	v_max3_f32 v48, v126, v127, v48                            // 0000000071DC: D1D30030 04C2FF7E
	ds_write_b32 v8, v48 offset:16896                          // 0000000071E4: D81A4200 00003008
	buffer_load_dwordx4 a[56:59], v29, s[16:19], 0 offen       // 0000000071EC: E05C1000 8084381D
	v_mul_u32_u24_dpp v64, v17, v54 row_newbcast:1 row_mask:0xf bank_mask:0xf// 0000000071F4: 10806CFA FF015111
	v_mul_u32_u24_dpp v65, v17, v54 row_newbcast:5 row_mask:0xf bank_mask:0xf// 0000000071FC: 10826CFA FF015511
	v_mul_u32_u24_dpp v66, v17, v54 row_newbcast:9 row_mask:0xf bank_mask:0xf// 000000007204: 10846CFA FF015911
	v_mul_u32_u24_dpp v67, v17, v54 row_newbcast:13 row_mask:0xf bank_mask:0xf// 00000000720C: 10866CFA FF015D11
	v_add_u32_e32 v34, v64, v6                                 // 000000007214: 68440D40
	v_add_u32_e32 v35, v65, v6                                 // 000000007218: 68460D41
	v_add_u32_e32 v36, v66, v6                                 // 00000000721C: 68480D42
	v_add_u32_e32 v37, v67, v6                                 // 000000007220: 684A0D43
	v_mul_f32_e32 v208, v49, v208                              // 000000007224: 0BA1A131
	v_mul_f32_e32 v209, v49, v209                              // 000000007228: 0BA3A331
	v_mul_f32_e32 v210, v49, v210                              // 00000000722C: 0BA5A531
	v_mul_f32_e32 v211, v49, v211                              // 000000007230: 0BA7A731
	v_mul_f32_e32 v212, v49, v212                              // 000000007234: 0BA9A931
	v_mul_f32_e32 v213, v49, v213                              // 000000007238: 0BABAB31
	v_mul_f32_e32 v214, v49, v214                              // 00000000723C: 0BADAD31
	v_mul_f32_e32 v215, v49, v215                              // 000000007240: 0BAFAF31
	s_waitcnt lgkmcnt(0)                                       // 000000007244: BF8CC07F
	s_barrier                                                  // 000000007248: BF8A0000
	ds_read_b32 v64, v7 offset:16896                           // 00000000724C: D86C4200 40000007
	ds_read_b32 v65, v7 offset:16960                           // 000000007254: D86C4240 41000007
	ds_read_b32 v66, v7 offset:17024                           // 00000000725C: D86C4280 42000007
	ds_read_b32 v67, v7 offset:17088                           // 000000007264: D86C42C0 43000007
	ds_read_b32 v68, v7 offset:17152                           // 00000000726C: D86C4300 44000007
	ds_read_b32 v69, v7 offset:17216                           // 000000007274: D86C4340 45000007
	ds_read_b32 v70, v7 offset:17280                           // 00000000727C: D86C4380 46000007
	ds_read_b32 v71, v7 offset:17344                           // 000000007284: D86C43C0 47000007
	ds_read_b32 v72, v7 offset:17408                           // 00000000728C: D86C4400 48000007
	ds_read_b32 v73, v7 offset:17472                           // 000000007294: D86C4440 49000007
	ds_read_b32 v74, v7 offset:17536                           // 00000000729C: D86C4480 4A000007
	ds_read_b32 v75, v7 offset:17600                           // 0000000072A4: D86C44C0 4B000007
	ds_read_b32 v76, v7 offset:17664                           // 0000000072AC: D86C4500 4C000007
	ds_read_b32 v77, v7 offset:17728                           // 0000000072B4: D86C4540 4D000007
	ds_read_b32 v78, v7 offset:17792                           // 0000000072BC: D86C4580 4E000007
	ds_read_b32 v79, v7 offset:17856                           // 0000000072C4: D86C45C0 4F000007
	buffer_load_dwordx4 a[60:63], v29, s[16:19], 0 offen offset:1024// 0000000072CC: E05C1400 80843C1D
	v_mul_f32_e32 v176, v44, v176                              // 0000000072D4: 0B61612C
	v_mul_f32_e32 v177, v44, v177                              // 0000000072D8: 0B63632C
	v_mul_f32_e32 v178, v44, v178                              // 0000000072DC: 0B65652C
	v_mul_f32_e32 v179, v44, v179                              // 0000000072E0: 0B67672C
	v_mul_f32_e32 v180, v44, v180                              // 0000000072E4: 0B69692C
	v_mul_f32_e32 v181, v44, v181                              // 0000000072E8: 0B6B6B2C
	v_mul_f32_e32 v182, v44, v182                              // 0000000072EC: 0B6D6D2C
	v_mul_f32_e32 v183, v44, v183                              // 0000000072F0: 0B6F6F2C
	s_waitcnt lgkmcnt(0)                                       // 0000000072F4: BF8CC07F
	v_max3_f32 v48, v64, v65, v48                              // 0000000072F8: D1D30030 04C28340
	v_max3_f32 v48, v66, v67, v48                              // 000000007300: D1D30030 04C28742
	v_max3_f32 v48, v68, v69, v48                              // 000000007308: D1D30030 04C28B44
	v_max3_f32 v48, v70, v71, v48                              // 000000007310: D1D30030 04C28F46
	v_max3_f32 v48, v72, v73, v48                              // 000000007318: D1D30030 04C29348
	v_max3_f32 v48, v74, v75, v48                              // 000000007320: D1D30030 04C2974A
	v_max3_f32 v48, v76, v77, v48                              // 000000007328: D1D30030 04C29B4C
	v_max3_f32 v48, v78, v79, v48                              // 000000007330: D1D30030 04C29F4E
	buffer_load_dwordx4 a[96:99], v34, s[20:23], 0 offen       // 000000007338: E05C1000 80856022
	v_mov_b32_e32 v64, 0xff800000                              // 000000007340: 7E8002FF FF800000
	v_cmp_eq_u32_e64 s[40:41], v64, v11                        // 000000007348: D0CA0028 00021740
	s_nop 1                                                    // 000000007350: BF800001
	v_max_f32_e32 v15, v48, v11                                // 000000007354: 161E1730
	v_mul_f32_e32 v53, s64, v15                                // 000000007358: 0A6A1E40
	v_fma_f32 v112, v112, s64, -v53                            // 00000000735C: D1CB0070 84D48170
	v_fma_f32 v113, v113, s64, -v53                            // 000000007364: D1CB0071 84D48171
	v_fma_f32 v114, v114, s64, -v53                            // 00000000736C: D1CB0072 84D48172
	v_fma_f32 v115, v115, s64, -v53                            // 000000007374: D1CB0073 84D48173
	v_fma_f32 v116, v116, s64, -v53                            // 00000000737C: D1CB0074 84D48174
	v_fma_f32 v117, v117, s64, -v53                            // 000000007384: D1CB0075 84D48175
	v_fma_f32 v118, v118, s64, -v53                            // 00000000738C: D1CB0076 84D48176
	v_fma_f32 v119, v119, s64, -v53                            // 000000007394: D1CB0077 84D48177
	v_fma_f32 v120, v120, s64, -v53                            // 00000000739C: D1CB0078 84D48178
	v_fma_f32 v121, v121, s64, -v53                            // 0000000073A4: D1CB0079 84D48179
	v_fma_f32 v122, v122, s64, -v53                            // 0000000073AC: D1CB007A 84D4817A
	v_fma_f32 v123, v123, s64, -v53                            // 0000000073B4: D1CB007B 84D4817B
	v_fma_f32 v124, v124, s64, -v53                            // 0000000073BC: D1CB007C 84D4817C
	v_fma_f32 v125, v125, s64, -v53                            // 0000000073C4: D1CB007D 84D4817D
	v_fma_f32 v126, v126, s64, -v53                            // 0000000073CC: D1CB007E 84D4817E
	v_fma_f32 v127, v127, s64, -v53                            // 0000000073D4: D1CB007F 84D4817F
	buffer_load_dwordx4 a[100:103], v35, s[20:23], 0 offen     // 0000000073DC: E05C1000 80856423
	v_exp_f32_e32 v112, v112                                   // 0000000073E4: 7EE04170
	v_exp_f32_e32 v113, v113                                   // 0000000073E8: 7EE24171
	v_exp_f32_e32 v114, v114                                   // 0000000073EC: 7EE44172
	v_exp_f32_e32 v115, v115                                   // 0000000073F0: 7EE64173
	v_exp_f32_e32 v116, v116                                   // 0000000073F4: 7EE84174
	v_exp_f32_e32 v117, v117                                   // 0000000073F8: 7EEA4175
	v_exp_f32_e32 v118, v118                                   // 0000000073FC: 7EEC4176
	v_exp_f32_e32 v119, v119                                   // 000000007400: 7EEE4177
	v_exp_f32_e32 v120, v120                                   // 000000007404: 7EF04178
	v_exp_f32_e32 v121, v121                                   // 000000007408: 7EF24179
	v_exp_f32_e32 v122, v122                                   // 00000000740C: 7EF4417A
	v_exp_f32_e32 v123, v123                                   // 000000007410: 7EF6417B
	v_exp_f32_e32 v124, v124                                   // 000000007414: 7EF8417C
	v_exp_f32_e32 v125, v125                                   // 000000007418: 7EFA417D
	v_exp_f32_e32 v126, v126                                   // 00000000741C: 7EFC417E
	v_exp_f32_e32 v127, v127                                   // 000000007420: 7EFE417F
	buffer_load_dwordx4 a[104:107], v36, s[20:23], 0 offen     // 000000007424: E05C1000 80856824
	v_mul_f32_dpp v240, v252, v112 quad_perm:[0,0,0,0] row_mask:0xf bank_mask:0xf// 00000000742C: 0BE0E0FA FF0000FC
	v_mul_f32_dpp v241, v252, v113 quad_perm:[1,1,1,1] row_mask:0xf bank_mask:0xf// 000000007434: 0BE2E2FA FF0055FC
	v_mul_f32_dpp v242, v252, v114 quad_perm:[2,2,2,2] row_mask:0xf bank_mask:0xf// 00000000743C: 0BE4E4FA FF00AAFC
	v_mul_f32_dpp v243, v252, v115 quad_perm:[3,3,3,3] row_mask:0xf bank_mask:0xf// 000000007444: 0BE6E6FA FF00FFFC
	v_mul_f32_dpp v244, v253, v116 quad_perm:[0,0,0,0] row_mask:0xf bank_mask:0xf// 00000000744C: 0BE8E8FA FF0000FD
	v_mul_f32_dpp v245, v253, v117 quad_perm:[1,1,1,1] row_mask:0xf bank_mask:0xf// 000000007454: 0BEAEAFA FF0055FD
	v_mul_f32_dpp v246, v253, v118 quad_perm:[2,2,2,2] row_mask:0xf bank_mask:0xf// 00000000745C: 0BECECFA FF00AAFD
	v_mul_f32_dpp v247, v253, v119 quad_perm:[3,3,3,3] row_mask:0xf bank_mask:0xf// 000000007464: 0BEEEEFA FF00FFFD
	v_mul_f32_dpp v248, v254, v120 quad_perm:[0,0,0,0] row_mask:0xf bank_mask:0xf// 00000000746C: 0BF0F0FA FF0000FE
	v_mul_f32_dpp v249, v254, v121 quad_perm:[1,1,1,1] row_mask:0xf bank_mask:0xf// 000000007474: 0BF2F2FA FF0055FE
	v_mul_f32_dpp v250, v254, v122 quad_perm:[2,2,2,2] row_mask:0xf bank_mask:0xf// 00000000747C: 0BF4F4FA FF00AAFE
	v_mul_f32_dpp v251, v254, v123 quad_perm:[3,3,3,3] row_mask:0xf bank_mask:0xf// 000000007484: 0BF6F6FA FF00FFFE
	v_mul_f32_dpp v252, v255, v124 quad_perm:[0,0,0,0] row_mask:0xf bank_mask:0xf// 00000000748C: 0BF8F8FA FF0000FF
	v_mul_f32_dpp v253, v255, v125 quad_perm:[1,1,1,1] row_mask:0xf bank_mask:0xf// 000000007494: 0BFAFAFA FF0055FF
	v_mul_f32_dpp v254, v255, v126 quad_perm:[2,2,2,2] row_mask:0xf bank_mask:0xf// 00000000749C: 0BFCFCFA FF00AAFF
	v_mul_f32_dpp v255, v255, v127 quad_perm:[3,3,3,3] row_mask:0xf bank_mask:0xf// 0000000074A4: 0BFEFEFA FF00FFFF
	v_mov_b32_e32 v48, 0x358637bd                              // 0000000074AC: 7E6002FF 358637BD
	v_max3_f32 v48, |v240|, |v241|, v48                        // 0000000074B4: D1D30330 04C3E3F0
	v_max3_f32 v48, |v242|, |v243|, v48                        // 0000000074BC: D1D30330 04C3E7F2
	v_max3_f32 v48, |v244|, |v245|, v48                        // 0000000074C4: D1D30330 04C3EBF4
	v_max3_f32 v48, |v246|, |v247|, v48                        // 0000000074CC: D1D30330 04C3EFF6
	v_max3_f32 v48, |v248|, |v249|, v48                        // 0000000074D4: D1D30330 04C3F3F8
	v_max3_f32 v48, |v250|, |v251|, v48                        // 0000000074DC: D1D30330 04C3F7FA
	v_max3_f32 v48, |v252|, |v253|, v48                        // 0000000074E4: D1D30330 04C3FBFC
	v_max3_f32 v48, |v254|, |v255|, v48                        // 0000000074EC: D1D30330 04C3FFFE
	buffer_load_dwordx4 a[108:111], v37, s[20:23], 0 offen     // 0000000074F4: E05C1000 80856C25
	ds_write_b32 v8, v48 offset:20992                          // 0000000074FC: D81A5200 00003008
	v_sub_f32_e32 v49, v11, v15                                // 000000007504: 04621F0B
	v_cndmask_b32_e64 v49, v49, 0, s[40:41]                    // 000000007508: D1000031 00A10131
	v_mov_b32_e32 v11, v15                                     // 000000007510: 7E16030F
	v_mul_f32_e32 v49, s64, v49                                // 000000007514: 0A626240
	v_exp_f32_e32 v49, v49                                     // 000000007518: 7E624131
	s_waitcnt lgkmcnt(0)                                       // 00000000751C: BF8CC07F
	s_barrier                                                  // 000000007520: BF8A0000
	ds_read_b32 v64, v7 offset:20992                           // 000000007524: D86C5200 40000007
	ds_read_b32 v65, v7 offset:21056                           // 00000000752C: D86C5240 41000007
	ds_read_b32 v66, v7 offset:21120                           // 000000007534: D86C5280 42000007
	ds_read_b32 v67, v7 offset:21184                           // 00000000753C: D86C52C0 43000007
	ds_read_b32 v68, v7 offset:21248                           // 000000007544: D86C5300 44000007
	ds_read_b32 v69, v7 offset:21312                           // 00000000754C: D86C5340 45000007
	ds_read_b32 v70, v7 offset:21376                           // 000000007554: D86C5380 46000007
	ds_read_b32 v71, v7 offset:21440                           // 00000000755C: D86C53C0 47000007
	ds_read_b32 v72, v7 offset:21504                           // 000000007564: D86C5400 48000007
	ds_read_b32 v73, v7 offset:21568                           // 00000000756C: D86C5440 49000007
	ds_read_b32 v74, v7 offset:21632                           // 000000007574: D86C5480 4A000007
	ds_read_b32 v75, v7 offset:21696                           // 00000000757C: D86C54C0 4B000007
	ds_read_b32 v76, v7 offset:21760                           // 000000007584: D86C5500 4C000007
	ds_read_b32 v77, v7 offset:21824                           // 00000000758C: D86C5540 4D000007
	ds_read_b32 v78, v7 offset:21888                           // 000000007594: D86C5580 4E000007
	ds_read_b32 v79, v7 offset:21952                           // 00000000759C: D86C55C0 4F000007
	v_mul_f32_e32 v38, v49, v38                                // 0000000075A4: 0A4C4D31
	v_mov_b32_e32 v15, v112                                    // 0000000075A8: 7E1E0370
	v_add_f32_e32 v15, v113, v15                               // 0000000075AC: 021E1F71
	v_add_f32_e32 v15, v114, v15                               // 0000000075B0: 021E1F72
	v_add_f32_e32 v15, v115, v15                               // 0000000075B4: 021E1F73
	v_add_f32_e32 v15, v116, v15                               // 0000000075B8: 021E1F74
	v_add_f32_e32 v15, v117, v15                               // 0000000075BC: 021E1F75
	v_add_f32_e32 v15, v118, v15                               // 0000000075C0: 021E1F76
	v_add_f32_e32 v15, v119, v15                               // 0000000075C4: 021E1F77
	v_add_f32_e32 v15, v120, v15                               // 0000000075C8: 021E1F78
	v_add_f32_e32 v15, v121, v15                               // 0000000075CC: 021E1F79
	v_add_f32_e32 v15, v122, v15                               // 0000000075D0: 021E1F7A
	v_add_f32_e32 v15, v123, v15                               // 0000000075D4: 021E1F7B
	v_add_f32_e32 v15, v124, v15                               // 0000000075D8: 021E1F7C
	v_add_f32_e32 v15, v125, v15                               // 0000000075DC: 021E1F7D
	v_add_f32_e32 v15, v126, v15                               // 0000000075E0: 021E1F7E
	v_add_f32_e32 v15, v127, v15                               // 0000000075E4: 021E1F7F
	v_add_f32_e32 v38, v15, v38                                // 0000000075E8: 024C4D0F
	s_waitcnt lgkmcnt(0)                                       // 0000000075EC: BF8CC07F
	v_max3_f32 v48, |v64|, |v65|, v48                          // 0000000075F0: D1D30330 04C28340
	v_max3_f32 v48, |v66|, |v67|, v48                          // 0000000075F8: D1D30330 04C28742
	v_max3_f32 v48, |v68|, |v69|, v48                          // 000000007600: D1D30330 04C28B44
	v_max3_f32 v48, |v70|, |v71|, v48                          // 000000007608: D1D30330 04C28F46
	v_max3_f32 v48, |v72|, |v73|, v48                          // 000000007610: D1D30330 04C29348
	v_max3_f32 v48, |v74|, |v75|, v48                          // 000000007618: D1D30330 04C2974A
	v_max3_f32 v48, |v76|, |v77|, v48                          // 000000007620: D1D30330 04C29B4C
	v_max3_f32 v48, |v78|, |v79|, v48                          // 000000007628: D1D30330 04C29F4E
	s_nop 2                                                    // 000000007630: BF800002
	v_rcp_f32_e32 v48, v48                                     // 000000007634: 7E604530
	s_nop 1                                                    // 000000007638: BF800001
	v_mul_f32_e32 v48, 0x43e00000, v48                         // 00000000763C: 0A6060FF 43E00000
	v_mul_f32_e32 v112, v48, v240                              // 000000007644: 0AE1E130
	v_mul_f32_e32 v113, v48, v241                              // 000000007648: 0AE3E330
	v_mul_f32_e32 v114, v48, v242                              // 00000000764C: 0AE5E530
	v_mul_f32_e32 v115, v48, v243                              // 000000007650: 0AE7E730
	v_mul_f32_e32 v116, v48, v244                              // 000000007654: 0AE9E930
	v_mul_f32_e32 v117, v48, v245                              // 000000007658: 0AEBEB30
	v_mul_f32_e32 v118, v48, v246                              // 00000000765C: 0AEDED30
	v_mul_f32_e32 v119, v48, v247                              // 000000007660: 0AEFEF30
	v_mul_f32_e32 v120, v48, v248                              // 000000007664: 0AF1F130
	v_mul_f32_e32 v121, v48, v249                              // 000000007668: 0AF3F330
	v_mul_f32_e32 v122, v48, v250                              // 00000000766C: 0AF5F530
	v_mul_f32_e32 v123, v48, v251                              // 000000007670: 0AF7F730
	v_mul_f32_e32 v124, v48, v252                              // 000000007674: 0AF9F930
	v_mul_f32_e32 v125, v48, v253                              // 000000007678: 0AFBFB30
	v_mul_f32_e32 v126, v48, v254                              // 00000000767C: 0AFDFD30
	v_mul_f32_e32 v127, v48, v255                              // 000000007680: 0AFFFF30
	v_cvt_pk_fp8_f32 v112, v112, v113                          // 000000007684: D2A20070 0002E370
	v_cvt_pk_fp8_f32 v112, v114, v115 op_sel:[0,0,1]           // 00000000768C: D2A24070 0002E772
	v_cvt_pk_fp8_f32 v113, v116, v117                          // 000000007694: D2A20071 0002EB74
	v_cvt_pk_fp8_f32 v113, v118, v119 op_sel:[0,0,1]           // 00000000769C: D2A24071 0002EF76
	v_cvt_pk_fp8_f32 v114, v120, v121                          // 0000000076A4: D2A20072 0002F378
	v_cvt_pk_fp8_f32 v114, v122, v123 op_sel:[0,0,1]           // 0000000076AC: D2A24072 0002F77A
	v_cvt_pk_fp8_f32 v115, v124, v125                          // 0000000076B4: D2A20073 0002FB7C
	v_cvt_pk_fp8_f32 v115, v126, v127 op_sel:[0,0,1]           // 0000000076BC: D2A24073 0002FF7E
	ds_write_b32 v10, v112 offset:25088                        // 0000000076C4: D81A6200 0000700A
	ds_write_b32 v10, v113 offset:26112                        // 0000000076CC: D81A6600 0000710A
	ds_write_b32 v10, v114 offset:27136                        // 0000000076D4: D81A6A00 0000720A
	ds_write_b32 v10, v115 offset:28160                        // 0000000076DC: D81A6E00 0000730A
	v_add_f32_e32 v208, v208, v176                             // 0000000076E4: 03A161D0
	v_add_f32_e32 v209, v209, v177                             // 0000000076E8: 03A363D1
	v_add_f32_e32 v210, v210, v178                             // 0000000076EC: 03A565D2
	v_add_f32_e32 v211, v211, v179                             // 0000000076F0: 03A767D3
	v_add_f32_e32 v212, v212, v180                             // 0000000076F4: 03A969D4
	v_add_f32_e32 v213, v213, v181                             // 0000000076F8: 03AB6BD5
	v_add_f32_e32 v214, v214, v182                             // 0000000076FC: 03AD6DD6
	v_add_f32_e32 v215, v215, v183                             // 000000007700: 03AF6FD7
	v_rcp_f32_e32 v44, v48                                     // 000000007704: 7E584530
	s_waitcnt lgkmcnt(0)                                       // 000000007708: BF8CC07F
	s_barrier                                                  // 00000000770C: BF8A0000
	ds_read_b64 v[112:113], v9 offset:25088                    // 000000007710: D8EC6200 70000009
	ds_read_b64 v[114:115], v9 offset:25216                    // 000000007718: D8EC6280 72000009
	ds_read_b64 v[116:117], v9 offset:26112                    // 000000007720: D8EC6600 74000009
	ds_read_b64 v[118:119], v9 offset:26240                    // 000000007728: D8EC6680 76000009
	ds_read_b64 v[120:121], v9 offset:27136                    // 000000007730: D8EC6A00 78000009
	ds_read_b64 v[122:123], v9 offset:27264                    // 000000007738: D8EC6A80 7A000009
	ds_read_b64 v[124:125], v9 offset:28160                    // 000000007740: D8EC6E00 7C000009
	ds_read_b64 v[126:127], v9 offset:28288                    // 000000007748: D8EC6E80 7E000009
	v_mov_b32_dpp v64, v42 row_shr:4 row_mask:0xf bank_mask:0xf// 000000007750: 7E8002FA FF01142A
	v_mov_b32_dpp v65, v42 row_shl:4 row_mask:0xf bank_mask:0xf// 000000007758: 7E8202FA FF01042A
	v_cndmask_b32_e64 v248, v42, v64, s[44:45]                 // 000000007760: D10000F8 00B2812A
	v_cndmask_b32_e64 v249, v65, v42, s[44:45]                 // 000000007768: D10000F9 00B25541
	v_mov_b32_dpp v64, v248 row_shr:8 row_mask:0xf bank_mask:0xf// 000000007770: 7E8002FA FF0118F8
	v_mov_b32_dpp v65, v248 row_shl:8 row_mask:0xf bank_mask:0xf// 000000007778: 7E8202FA FF0108F8
	v_mov_b32_dpp v66, v249 row_shr:8 row_mask:0xf bank_mask:0xf// 000000007780: 7E8402FA FF0118F9
	v_mov_b32_dpp v67, v249 row_shl:8 row_mask:0xf bank_mask:0xf// 000000007788: 7E8602FA FF0108F9
	v_mov_b32_e32 v68, v248                                    // 000000007790: 7E8803F8
	v_mov_b32_e32 v69, v249                                    // 000000007794: 7E8A03F9
	v_cndmask_b32_e64 v248, v68, v64, s[42:43]                 // 000000007798: D10000F8 00AA8144
	v_cndmask_b32_e64 v250, v68, v65, s[78:79]                 // 0000000077A0: D10000FA 013A8344
	v_cndmask_b32_e64 v249, v69, v66, s[42:43]                 // 0000000077A8: D10000F9 00AA8545
	v_cndmask_b32_e64 v251, v69, v67, s[78:79]                 // 0000000077B0: D10000FB 013A8745
	v_mov_b32_dpp v64, v57 row_shr:4 row_mask:0xf bank_mask:0xf// 0000000077B8: 7E8002FA FF011439
	v_mov_b32_dpp v65, v57 row_shl:4 row_mask:0xf bank_mask:0xf// 0000000077C0: 7E8202FA FF010439
	v_cndmask_b32_e64 v252, v57, v64, s[44:45]                 // 0000000077C8: D10000FC 00B28139
	v_cndmask_b32_e64 v253, v65, v57, s[44:45]                 // 0000000077D0: D10000FD 00B27341
	v_mov_b32_dpp v64, v252 row_shr:8 row_mask:0xf bank_mask:0xf// 0000000077D8: 7E8002FA FF0118FC
	v_mov_b32_dpp v65, v252 row_shl:8 row_mask:0xf bank_mask:0xf// 0000000077E0: 7E8202FA FF0108FC
	v_mov_b32_dpp v66, v253 row_shr:8 row_mask:0xf bank_mask:0xf// 0000000077E8: 7E8402FA FF0118FD
	v_mov_b32_dpp v67, v253 row_shl:8 row_mask:0xf bank_mask:0xf// 0000000077F0: 7E8602FA FF0108FD
	v_mov_b32_e32 v68, v252                                    // 0000000077F8: 7E8803FC
	v_mov_b32_e32 v69, v253                                    // 0000000077FC: 7E8A03FD
	v_cndmask_b32_e64 v252, v68, v64, s[42:43]                 // 000000007800: D10000FC 00AA8144
	v_cndmask_b32_e64 v254, v68, v65, s[78:79]                 // 000000007808: D10000FE 013A8344
	v_cndmask_b32_e64 v253, v69, v66, s[42:43]                 // 000000007810: D10000FD 00AA8545
	v_cndmask_b32_e64 v255, v69, v67, s[78:79]                 // 000000007818: D10000FF 013A8745
	v_mul_f32_e32 v128, v19, v128                              // 000000007820: 0B010113
	v_mul_f32_e32 v129, v19, v129                              // 000000007824: 0B030313
	v_mul_f32_e32 v130, v19, v130                              // 000000007828: 0B050513
	v_mul_f32_e32 v131, v19, v131                              // 00000000782C: 0B070713
	v_mul_f32_e32 v132, v19, v132                              // 000000007830: 0B090913
	v_mul_f32_e32 v133, v19, v133                              // 000000007834: 0B0B0B13
	v_mul_f32_e32 v134, v19, v134                              // 000000007838: 0B0D0D13
	v_mul_f32_e32 v135, v19, v135                              // 00000000783C: 0B0F0F13
	v_mul_f32_e32 v136, v19, v136                              // 000000007840: 0B111113
	v_mul_f32_e32 v137, v19, v137                              // 000000007844: 0B131313
	v_mul_f32_e32 v138, v19, v138                              // 000000007848: 0B151513
	v_mul_f32_e32 v139, v19, v139                              // 00000000784C: 0B171713
	v_mul_f32_e32 v140, v19, v140                              // 000000007850: 0B191913
	v_mul_f32_e32 v141, v19, v141                              // 000000007854: 0B1B1B13
	v_mul_f32_e32 v142, v19, v142                              // 000000007858: 0B1D1D13
	v_mul_f32_e32 v143, v19, v143                              // 00000000785C: 0B1F1F13
	v_mul_f32_dpp v128, v248, v128 quad_perm:[0,0,0,0] row_mask:0xf bank_mask:0xf// 000000007860: 0B0100FA FF0000F8
	v_mul_f32_dpp v129, v248, v129 quad_perm:[1,1,1,1] row_mask:0xf bank_mask:0xf// 000000007868: 0B0302FA FF0055F8
	v_mul_f32_dpp v130, v248, v130 quad_perm:[2,2,2,2] row_mask:0xf bank_mask:0xf// 000000007870: 0B0504FA FF00AAF8
	v_mul_f32_dpp v131, v248, v131 quad_perm:[3,3,3,3] row_mask:0xf bank_mask:0xf// 000000007878: 0B0706FA FF00FFF8
	v_mul_f32_dpp v132, v249, v132 quad_perm:[0,0,0,0] row_mask:0xf bank_mask:0xf// 000000007880: 0B0908FA FF0000F9
	v_mul_f32_dpp v133, v249, v133 quad_perm:[1,1,1,1] row_mask:0xf bank_mask:0xf// 000000007888: 0B0B0AFA FF0055F9
	v_mul_f32_dpp v134, v249, v134 quad_perm:[2,2,2,2] row_mask:0xf bank_mask:0xf// 000000007890: 0B0D0CFA FF00AAF9
	v_mul_f32_dpp v135, v249, v135 quad_perm:[3,3,3,3] row_mask:0xf bank_mask:0xf// 000000007898: 0B0F0EFA FF00FFF9
	v_mul_f32_dpp v136, v250, v136 quad_perm:[0,0,0,0] row_mask:0xf bank_mask:0xf// 0000000078A0: 0B1110FA FF0000FA
	v_mul_f32_dpp v137, v250, v137 quad_perm:[1,1,1,1] row_mask:0xf bank_mask:0xf// 0000000078A8: 0B1312FA FF0055FA
	v_mul_f32_dpp v138, v250, v138 quad_perm:[2,2,2,2] row_mask:0xf bank_mask:0xf// 0000000078B0: 0B1514FA FF00AAFA
	v_mul_f32_dpp v139, v250, v139 quad_perm:[3,3,3,3] row_mask:0xf bank_mask:0xf// 0000000078B8: 0B1716FA FF00FFFA
	v_mul_f32_dpp v140, v251, v140 quad_perm:[0,0,0,0] row_mask:0xf bank_mask:0xf// 0000000078C0: 0B1918FA FF0000FB
	v_mul_f32_dpp v141, v251, v141 quad_perm:[1,1,1,1] row_mask:0xf bank_mask:0xf// 0000000078C8: 0B1B1AFA FF0055FB
	v_mul_f32_dpp v142, v251, v142 quad_perm:[2,2,2,2] row_mask:0xf bank_mask:0xf// 0000000078D0: 0B1D1CFA FF00AAFB
	v_mul_f32_dpp v143, v251, v143 quad_perm:[3,3,3,3] row_mask:0xf bank_mask:0xf// 0000000078D8: 0B1F1EFA FF00FFFB
	v_mov_b32_e32 v48, v128                                    // 0000000078E0: 7E600380
	v_max3_f32 v48, v128, v129, v48                            // 0000000078E4: D1D30030 04C30380
	v_max3_f32 v48, v130, v131, v48                            // 0000000078EC: D1D30030 04C30782
	v_max3_f32 v48, v132, v133, v48                            // 0000000078F4: D1D30030 04C30B84
	v_max3_f32 v48, v134, v135, v48                            // 0000000078FC: D1D30030 04C30F86
	v_max3_f32 v48, v136, v137, v48                            // 000000007904: D1D30030 04C31388
	v_max3_f32 v48, v138, v139, v48                            // 00000000790C: D1D30030 04C3178A
	v_max3_f32 v48, v140, v141, v48                            // 000000007914: D1D30030 04C31B8C
	v_max3_f32 v48, v142, v143, v48                            // 00000000791C: D1D30030 04C31F8E
	ds_write_b32 v8, v48 offset:16896                          // 000000007924: D81A4200 00003008
	v_mul_f32_e32 v216, v50, v216                              // 00000000792C: 0BB1B132
	v_mul_f32_e32 v217, v50, v217                              // 000000007930: 0BB3B332
	v_mul_f32_e32 v218, v50, v218                              // 000000007934: 0BB5B532
	v_mul_f32_e32 v219, v50, v219                              // 000000007938: 0BB7B732
	v_mul_f32_e32 v220, v50, v220                              // 00000000793C: 0BB9B932
	v_mul_f32_e32 v221, v50, v221                              // 000000007940: 0BBBBB32
	v_mul_f32_e32 v222, v50, v222                              // 000000007944: 0BBDBD32
	v_mul_f32_e32 v223, v50, v223                              // 000000007948: 0BBFBF32
	s_waitcnt lgkmcnt(0)                                       // 00000000794C: BF8CC07F
	s_barrier                                                  // 000000007950: BF8A0000
	ds_read_b32 v64, v7 offset:16896                           // 000000007954: D86C4200 40000007
	ds_read_b32 v65, v7 offset:16960                           // 00000000795C: D86C4240 41000007
	ds_read_b32 v66, v7 offset:17024                           // 000000007964: D86C4280 42000007
	ds_read_b32 v67, v7 offset:17088                           // 00000000796C: D86C42C0 43000007
	ds_read_b32 v68, v7 offset:17152                           // 000000007974: D86C4300 44000007
	ds_read_b32 v69, v7 offset:17216                           // 00000000797C: D86C4340 45000007
	ds_read_b32 v70, v7 offset:17280                           // 000000007984: D86C4380 46000007
	ds_read_b32 v71, v7 offset:17344                           // 00000000798C: D86C43C0 47000007
	ds_read_b32 v72, v7 offset:17408                           // 000000007994: D86C4400 48000007
	ds_read_b32 v73, v7 offset:17472                           // 00000000799C: D86C4440 49000007
	ds_read_b32 v74, v7 offset:17536                           // 0000000079A4: D86C4480 4A000007
	ds_read_b32 v75, v7 offset:17600                           // 0000000079AC: D86C44C0 4B000007
	ds_read_b32 v76, v7 offset:17664                           // 0000000079B4: D86C4500 4C000007
	ds_read_b32 v77, v7 offset:17728                           // 0000000079BC: D86C4540 4D000007
	ds_read_b32 v78, v7 offset:17792                           // 0000000079C4: D86C4580 4E000007
	ds_read_b32 v79, v7 offset:17856                           // 0000000079CC: D86C45C0 4F000007
	v_mul_f32_e32 v184, v45, v184                              // 0000000079D4: 0B71712D
	v_mul_f32_e32 v185, v45, v185                              // 0000000079D8: 0B73732D
	v_mul_f32_e32 v186, v45, v186                              // 0000000079DC: 0B75752D
	v_mul_f32_e32 v187, v45, v187                              // 0000000079E0: 0B77772D
	v_mul_f32_e32 v188, v45, v188                              // 0000000079E4: 0B79792D
	v_mul_f32_e32 v189, v45, v189                              // 0000000079E8: 0B7B7B2D
	v_mul_f32_e32 v190, v45, v190                              // 0000000079EC: 0B7D7D2D
	v_mul_f32_e32 v191, v45, v191                              // 0000000079F0: 0B7F7F2D
	s_waitcnt lgkmcnt(0)                                       // 0000000079F4: BF8CC07F
	v_max3_f32 v48, v64, v65, v48                              // 0000000079F8: D1D30030 04C28340
	v_max3_f32 v48, v66, v67, v48                              // 000000007A00: D1D30030 04C28742
	v_max3_f32 v48, v68, v69, v48                              // 000000007A08: D1D30030 04C28B44
	v_max3_f32 v48, v70, v71, v48                              // 000000007A10: D1D30030 04C28F46
	v_max3_f32 v48, v72, v73, v48                              // 000000007A18: D1D30030 04C29348
	v_max3_f32 v48, v74, v75, v48                              // 000000007A20: D1D30030 04C2974A
	v_max3_f32 v48, v76, v77, v48                              // 000000007A28: D1D30030 04C29B4C
	v_max3_f32 v48, v78, v79, v48                              // 000000007A30: D1D30030 04C29F4E
	v_mov_b32_e32 v64, 0xff800000                              // 000000007A38: 7E8002FF FF800000
	v_cmp_eq_u32_e64 s[40:41], v64, v12                        // 000000007A40: D0CA0028 00021940
	s_nop 1                                                    // 000000007A48: BF800001
	v_max_f32_e32 v15, v48, v12                                // 000000007A4C: 161E1930
	v_mul_f32_e32 v53, s64, v15                                // 000000007A50: 0A6A1E40
	v_fma_f32 v128, v128, s64, -v53                            // 000000007A54: D1CB0080 84D48180
	v_fma_f32 v129, v129, s64, -v53                            // 000000007A5C: D1CB0081 84D48181
	v_fma_f32 v130, v130, s64, -v53                            // 000000007A64: D1CB0082 84D48182
	v_fma_f32 v131, v131, s64, -v53                            // 000000007A6C: D1CB0083 84D48183
	v_fma_f32 v132, v132, s64, -v53                            // 000000007A74: D1CB0084 84D48184
	v_fma_f32 v133, v133, s64, -v53                            // 000000007A7C: D1CB0085 84D48185
	v_fma_f32 v134, v134, s64, -v53                            // 000000007A84: D1CB0086 84D48186
	v_fma_f32 v135, v135, s64, -v53                            // 000000007A8C: D1CB0087 84D48187
	v_fma_f32 v136, v136, s64, -v53                            // 000000007A94: D1CB0088 84D48188
	v_fma_f32 v137, v137, s64, -v53                            // 000000007A9C: D1CB0089 84D48189
	v_fma_f32 v138, v138, s64, -v53                            // 000000007AA4: D1CB008A 84D4818A
	v_fma_f32 v139, v139, s64, -v53                            // 000000007AAC: D1CB008B 84D4818B
	v_fma_f32 v140, v140, s64, -v53                            // 000000007AB4: D1CB008C 84D4818C
	v_fma_f32 v141, v141, s64, -v53                            // 000000007ABC: D1CB008D 84D4818D
	v_fma_f32 v142, v142, s64, -v53                            // 000000007AC4: D1CB008E 84D4818E
	v_fma_f32 v143, v143, s64, -v53                            // 000000007ACC: D1CB008F 84D4818F
	v_exp_f32_e32 v128, v128                                   // 000000007AD4: 7F004180
	v_exp_f32_e32 v129, v129                                   // 000000007AD8: 7F024181
	v_exp_f32_e32 v130, v130                                   // 000000007ADC: 7F044182
	v_exp_f32_e32 v131, v131                                   // 000000007AE0: 7F064183
	v_exp_f32_e32 v132, v132                                   // 000000007AE4: 7F084184
	v_exp_f32_e32 v133, v133                                   // 000000007AE8: 7F0A4185
	v_exp_f32_e32 v134, v134                                   // 000000007AEC: 7F0C4186
	v_exp_f32_e32 v135, v135                                   // 000000007AF0: 7F0E4187
	v_exp_f32_e32 v136, v136                                   // 000000007AF4: 7F104188
	v_exp_f32_e32 v137, v137                                   // 000000007AF8: 7F124189
	v_exp_f32_e32 v138, v138                                   // 000000007AFC: 7F14418A
	v_exp_f32_e32 v139, v139                                   // 000000007B00: 7F16418B
	v_exp_f32_e32 v140, v140                                   // 000000007B04: 7F18418C
	v_exp_f32_e32 v141, v141                                   // 000000007B08: 7F1A418D
	v_exp_f32_e32 v142, v142                                   // 000000007B0C: 7F1C418E
	v_exp_f32_e32 v143, v143                                   // 000000007B10: 7F1E418F
	v_mul_f32_dpp v240, v252, v128 quad_perm:[0,0,0,0] row_mask:0xf bank_mask:0xf// 000000007B14: 0BE100FA FF0000FC
	v_mul_f32_dpp v241, v252, v129 quad_perm:[1,1,1,1] row_mask:0xf bank_mask:0xf// 000000007B1C: 0BE302FA FF0055FC
	v_mul_f32_dpp v242, v252, v130 quad_perm:[2,2,2,2] row_mask:0xf bank_mask:0xf// 000000007B24: 0BE504FA FF00AAFC
	v_mul_f32_dpp v243, v252, v131 quad_perm:[3,3,3,3] row_mask:0xf bank_mask:0xf// 000000007B2C: 0BE706FA FF00FFFC
	v_mul_f32_dpp v244, v253, v132 quad_perm:[0,0,0,0] row_mask:0xf bank_mask:0xf// 000000007B34: 0BE908FA FF0000FD
	v_mul_f32_dpp v245, v253, v133 quad_perm:[1,1,1,1] row_mask:0xf bank_mask:0xf// 000000007B3C: 0BEB0AFA FF0055FD
	v_mul_f32_dpp v246, v253, v134 quad_perm:[2,2,2,2] row_mask:0xf bank_mask:0xf// 000000007B44: 0BED0CFA FF00AAFD
	v_mul_f32_dpp v247, v253, v135 quad_perm:[3,3,3,3] row_mask:0xf bank_mask:0xf// 000000007B4C: 0BEF0EFA FF00FFFD
	v_mul_f32_dpp v248, v254, v136 quad_perm:[0,0,0,0] row_mask:0xf bank_mask:0xf// 000000007B54: 0BF110FA FF0000FE
	v_mul_f32_dpp v249, v254, v137 quad_perm:[1,1,1,1] row_mask:0xf bank_mask:0xf// 000000007B5C: 0BF312FA FF0055FE
	v_mul_f32_dpp v250, v254, v138 quad_perm:[2,2,2,2] row_mask:0xf bank_mask:0xf// 000000007B64: 0BF514FA FF00AAFE
	v_mul_f32_dpp v251, v254, v139 quad_perm:[3,3,3,3] row_mask:0xf bank_mask:0xf// 000000007B6C: 0BF716FA FF00FFFE
	v_mul_f32_dpp v252, v255, v140 quad_perm:[0,0,0,0] row_mask:0xf bank_mask:0xf// 000000007B74: 0BF918FA FF0000FF
	v_mul_f32_dpp v253, v255, v141 quad_perm:[1,1,1,1] row_mask:0xf bank_mask:0xf// 000000007B7C: 0BFB1AFA FF0055FF
	v_mul_f32_dpp v254, v255, v142 quad_perm:[2,2,2,2] row_mask:0xf bank_mask:0xf// 000000007B84: 0BFD1CFA FF00AAFF
	v_mul_f32_dpp v255, v255, v143 quad_perm:[3,3,3,3] row_mask:0xf bank_mask:0xf// 000000007B8C: 0BFF1EFA FF00FFFF
	v_mov_b32_e32 v48, 0x358637bd                              // 000000007B94: 7E6002FF 358637BD
	v_max3_f32 v48, |v240|, |v241|, v48                        // 000000007B9C: D1D30330 04C3E3F0
	v_max3_f32 v48, |v242|, |v243|, v48                        // 000000007BA4: D1D30330 04C3E7F2
	v_max3_f32 v48, |v244|, |v245|, v48                        // 000000007BAC: D1D30330 04C3EBF4
	v_max3_f32 v48, |v246|, |v247|, v48                        // 000000007BB4: D1D30330 04C3EFF6
	v_max3_f32 v48, |v248|, |v249|, v48                        // 000000007BBC: D1D30330 04C3F3F8
	v_max3_f32 v48, |v250|, |v251|, v48                        // 000000007BC4: D1D30330 04C3F7FA
	v_max3_f32 v48, |v252|, |v253|, v48                        // 000000007BCC: D1D30330 04C3FBFC
	v_max3_f32 v48, |v254|, |v255|, v48                        // 000000007BD4: D1D30330 04C3FFFE
	ds_write_b32 v8, v48 offset:20992                          // 000000007BDC: D81A5200 00003008
	v_sub_f32_e32 v50, v12, v15                                // 000000007BE4: 04641F0C
	v_cndmask_b32_e64 v50, v50, 0, s[40:41]                    // 000000007BE8: D1000032 00A10132
	v_mov_b32_e32 v12, v15                                     // 000000007BF0: 7E18030F
	v_mul_f32_e32 v50, s64, v50                                // 000000007BF4: 0A646440
	v_exp_f32_e32 v50, v50                                     // 000000007BF8: 7E644132
	s_waitcnt lgkmcnt(0)                                       // 000000007BFC: BF8CC07F
	s_barrier                                                  // 000000007C00: BF8A0000
	ds_read_b32 v64, v7 offset:20992                           // 000000007C04: D86C5200 40000007
	ds_read_b32 v65, v7 offset:21056                           // 000000007C0C: D86C5240 41000007
	ds_read_b32 v66, v7 offset:21120                           // 000000007C14: D86C5280 42000007
	ds_read_b32 v67, v7 offset:21184                           // 000000007C1C: D86C52C0 43000007
	ds_read_b32 v68, v7 offset:21248                           // 000000007C24: D86C5300 44000007
	ds_read_b32 v69, v7 offset:21312                           // 000000007C2C: D86C5340 45000007
	ds_read_b32 v70, v7 offset:21376                           // 000000007C34: D86C5380 46000007
	ds_read_b32 v71, v7 offset:21440                           // 000000007C3C: D86C53C0 47000007
	ds_read_b32 v72, v7 offset:21504                           // 000000007C44: D86C5400 48000007
	ds_read_b32 v73, v7 offset:21568                           // 000000007C4C: D86C5440 49000007
	ds_read_b32 v74, v7 offset:21632                           // 000000007C54: D86C5480 4A000007
	ds_read_b32 v75, v7 offset:21696                           // 000000007C5C: D86C54C0 4B000007
	ds_read_b32 v76, v7 offset:21760                           // 000000007C64: D86C5500 4C000007
	ds_read_b32 v77, v7 offset:21824                           // 000000007C6C: D86C5540 4D000007
	ds_read_b32 v78, v7 offset:21888                           // 000000007C74: D86C5580 4E000007
	ds_read_b32 v79, v7 offset:21952                           // 000000007C7C: D86C55C0 4F000007
	v_mul_f32_e32 v39, v50, v39                                // 000000007C84: 0A4E4F32
	v_mov_b32_e32 v15, v128                                    // 000000007C88: 7E1E0380
	v_add_f32_e32 v15, v129, v15                               // 000000007C8C: 021E1F81
	v_add_f32_e32 v15, v130, v15                               // 000000007C90: 021E1F82
	v_add_f32_e32 v15, v131, v15                               // 000000007C94: 021E1F83
	v_add_f32_e32 v15, v132, v15                               // 000000007C98: 021E1F84
	v_add_f32_e32 v15, v133, v15                               // 000000007C9C: 021E1F85
	v_add_f32_e32 v15, v134, v15                               // 000000007CA0: 021E1F86
	v_add_f32_e32 v15, v135, v15                               // 000000007CA4: 021E1F87
	v_add_f32_e32 v15, v136, v15                               // 000000007CA8: 021E1F88
	v_add_f32_e32 v15, v137, v15                               // 000000007CAC: 021E1F89
	v_add_f32_e32 v15, v138, v15                               // 000000007CB0: 021E1F8A
	v_add_f32_e32 v15, v139, v15                               // 000000007CB4: 021E1F8B
	v_add_f32_e32 v15, v140, v15                               // 000000007CB8: 021E1F8C
	v_add_f32_e32 v15, v141, v15                               // 000000007CBC: 021E1F8D
	v_add_f32_e32 v15, v142, v15                               // 000000007CC0: 021E1F8E
	v_add_f32_e32 v15, v143, v15                               // 000000007CC4: 021E1F8F
	v_add_f32_e32 v39, v15, v39                                // 000000007CC8: 024E4F0F
	s_waitcnt lgkmcnt(0)                                       // 000000007CCC: BF8CC07F
	v_max3_f32 v48, |v64|, |v65|, v48                          // 000000007CD0: D1D30330 04C28340
	v_max3_f32 v48, |v66|, |v67|, v48                          // 000000007CD8: D1D30330 04C28742
	v_max3_f32 v48, |v68|, |v69|, v48                          // 000000007CE0: D1D30330 04C28B44
	v_max3_f32 v48, |v70|, |v71|, v48                          // 000000007CE8: D1D30330 04C28F46
	v_max3_f32 v48, |v72|, |v73|, v48                          // 000000007CF0: D1D30330 04C29348
	v_max3_f32 v48, |v74|, |v75|, v48                          // 000000007CF8: D1D30330 04C2974A
	v_max3_f32 v48, |v76|, |v77|, v48                          // 000000007D00: D1D30330 04C29B4C
	v_max3_f32 v48, |v78|, |v79|, v48                          // 000000007D08: D1D30330 04C29F4E
	s_nop 2                                                    // 000000007D10: BF800002
	v_rcp_f32_e32 v48, v48                                     // 000000007D14: 7E604530
	s_nop 1                                                    // 000000007D18: BF800001
	v_mul_f32_e32 v48, 0x43e00000, v48                         // 000000007D1C: 0A6060FF 43E00000
	v_mul_f32_e32 v128, v48, v240                              // 000000007D24: 0B01E130
	v_mul_f32_e32 v129, v48, v241                              // 000000007D28: 0B03E330
	v_mul_f32_e32 v130, v48, v242                              // 000000007D2C: 0B05E530
	v_mul_f32_e32 v131, v48, v243                              // 000000007D30: 0B07E730
	v_mul_f32_e32 v132, v48, v244                              // 000000007D34: 0B09E930
	v_mul_f32_e32 v133, v48, v245                              // 000000007D38: 0B0BEB30
	v_mul_f32_e32 v134, v48, v246                              // 000000007D3C: 0B0DED30
	v_mul_f32_e32 v135, v48, v247                              // 000000007D40: 0B0FEF30
	v_mul_f32_e32 v136, v48, v248                              // 000000007D44: 0B11F130
	v_mul_f32_e32 v137, v48, v249                              // 000000007D48: 0B13F330
	v_mul_f32_e32 v138, v48, v250                              // 000000007D4C: 0B15F530
	v_mul_f32_e32 v139, v48, v251                              // 000000007D50: 0B17F730
	v_mul_f32_e32 v140, v48, v252                              // 000000007D54: 0B19F930
	v_mul_f32_e32 v141, v48, v253                              // 000000007D58: 0B1BFB30
	v_mul_f32_e32 v142, v48, v254                              // 000000007D5C: 0B1DFD30
	v_mul_f32_e32 v143, v48, v255                              // 000000007D60: 0B1FFF30
	v_cvt_pk_fp8_f32 v128, v128, v129                          // 000000007D64: D2A20080 00030380
	v_cvt_pk_fp8_f32 v128, v130, v131 op_sel:[0,0,1]           // 000000007D6C: D2A24080 00030782
	v_cvt_pk_fp8_f32 v129, v132, v133                          // 000000007D74: D2A20081 00030B84
	v_cvt_pk_fp8_f32 v129, v134, v135 op_sel:[0,0,1]           // 000000007D7C: D2A24081 00030F86
	v_cvt_pk_fp8_f32 v130, v136, v137                          // 000000007D84: D2A20082 00031388
	v_cvt_pk_fp8_f32 v130, v138, v139 op_sel:[0,0,1]           // 000000007D8C: D2A24082 0003178A
	v_cvt_pk_fp8_f32 v131, v140, v141                          // 000000007D94: D2A20083 00031B8C
	v_cvt_pk_fp8_f32 v131, v142, v143 op_sel:[0,0,1]           // 000000007D9C: D2A24083 00031F8E
	ds_write_b32 v10, v128 offset:29184                        // 000000007DA4: D81A7200 0000800A
	ds_write_b32 v10, v129 offset:30208                        // 000000007DAC: D81A7600 0000810A
	ds_write_b32 v10, v130 offset:31232                        // 000000007DB4: D81A7A00 0000820A
	ds_write_b32 v10, v131 offset:32256                        // 000000007DBC: D81A7E00 0000830A
	v_add_f32_e32 v216, v216, v184                             // 000000007DC4: 03B171D8
	v_add_f32_e32 v217, v217, v185                             // 000000007DC8: 03B373D9
	v_add_f32_e32 v218, v218, v186                             // 000000007DCC: 03B575DA
	v_add_f32_e32 v219, v219, v187                             // 000000007DD0: 03B777DB
	v_add_f32_e32 v220, v220, v188                             // 000000007DD4: 03B979DC
	v_add_f32_e32 v221, v221, v189                             // 000000007DD8: 03BB7BDD
	v_add_f32_e32 v222, v222, v190                             // 000000007DDC: 03BD7DDE
	v_add_f32_e32 v223, v223, v191                             // 000000007DE0: 03BF7FDF
	v_rcp_f32_e32 v45, v48                                     // 000000007DE4: 7E5A4530
	s_waitcnt lgkmcnt(0)                                       // 000000007DE8: BF8CC07F
	s_barrier                                                  // 000000007DEC: BF8A0000
	ds_read_b64 v[128:129], v9 offset:29184                    // 000000007DF0: D8EC7200 80000009
	ds_read_b64 v[130:131], v9 offset:29312                    // 000000007DF8: D8EC7280 82000009
	ds_read_b64 v[132:133], v9 offset:30208                    // 000000007E00: D8EC7600 84000009
	ds_read_b64 v[134:135], v9 offset:30336                    // 000000007E08: D8EC7680 86000009
	ds_read_b64 v[136:137], v9 offset:31232                    // 000000007E10: D8EC7A00 88000009
	ds_read_b64 v[138:139], v9 offset:31360                    // 000000007E18: D8EC7A80 8A000009
	ds_read_b64 v[140:141], v9 offset:32256                    // 000000007E20: D8EC7E00 8C000009
	ds_read_b64 v[142:143], v9 offset:32384                    // 000000007E28: D8EC7E80 8E000009
	s_waitcnt vmcnt(15)                                        // 000000007E30: BF8C0F7F
	v_mfma_f32_16x16x32_fp8_fp8 v[176:179], a[64:65], v[112:113], 0// 000000007E34: D3F300B0 0A02E140
	v_mfma_f32_16x16x32_fp8_fp8 v[176:179], a[66:67], v[114:115], v[176:179]// 000000007E3C: D3F300B0 0EC2E542
	buffer_load_dwordx4 a[112:115], v34, s[20:23], 0 offen offset:1024// 000000007E44: E05C1400 80857022
	v_mfma_f32_16x16x32_fp8_fp8 v[176:179], a[68:69], v[116:117], v[176:179]// 000000007E4C: D3F300B0 0EC2E944
	v_mfma_f32_16x16x32_fp8_fp8 v[176:179], a[70:71], v[118:119], v[176:179]// 000000007E54: D3F300B0 0EC2ED46
	v_mfma_f32_16x16x32_fp8_fp8 v[176:179], a[72:73], v[120:121], v[176:179]// 000000007E5C: D3F300B0 0EC2F148
	v_mfma_f32_16x16x32_fp8_fp8 v[176:179], a[74:75], v[122:123], v[176:179]// 000000007E64: D3F300B0 0EC2F54A
	buffer_load_dwordx4 a[116:119], v35, s[20:23], 0 offen offset:1024// 000000007E6C: E05C1400 80857423
	v_mfma_f32_16x16x32_fp8_fp8 v[176:179], a[76:77], v[124:125], v[176:179]// 000000007E74: D3F300B0 0EC2F94C
	v_mfma_f32_16x16x32_fp8_fp8 v[176:179], a[78:79], v[126:127], v[176:179]// 000000007E7C: D3F300B0 0EC2FD4E
	v_mfma_f32_16x16x32_fp8_fp8 v[180:183], a[80:81], v[112:113], 0// 000000007E84: D3F300B4 0A02E150
	v_mfma_f32_16x16x32_fp8_fp8 v[180:183], a[82:83], v[114:115], v[180:183]// 000000007E8C: D3F300B4 0ED2E552
	buffer_load_dwordx4 a[120:123], v36, s[20:23], 0 offen offset:1024// 000000007E94: E05C1400 80857824
	v_mfma_f32_16x16x32_fp8_fp8 v[180:183], a[84:85], v[116:117], v[180:183]// 000000007E9C: D3F300B4 0ED2E954
	v_mfma_f32_16x16x32_fp8_fp8 v[180:183], a[86:87], v[118:119], v[180:183]// 000000007EA4: D3F300B4 0ED2ED56
	v_mfma_f32_16x16x32_fp8_fp8 v[180:183], a[88:89], v[120:121], v[180:183]// 000000007EAC: D3F300B4 0ED2F158
	v_mfma_f32_16x16x32_fp8_fp8 v[180:183], a[90:91], v[122:123], v[180:183]// 000000007EB4: D3F300B4 0ED2F55A
	buffer_load_dwordx4 a[124:127], v37, s[20:23], 0 offen offset:1024// 000000007EBC: E05C1400 80857C25
	v_mfma_f32_16x16x32_fp8_fp8 v[180:183], a[92:93], v[124:125], v[180:183]// 000000007EC4: D3F300B4 0ED2F95C
	s_lshr_b32 s57, s70, 4                                     // 000000007ECC: 8F398446
	s_add_u32 s57, 48, s57                                     // 000000007ED0: 803939B0
	v_mfma_f32_16x16x32_fp8_fp8 v[180:183], a[94:95], v[126:127], v[180:183]// 000000007ED4: D3F300B4 0ED2FD5E
	s_cmp_ge_u32 s57, s73                                      // 000000007EDC: BF094939
	s_cselect_b32 s56, 0, s56                                  // 000000007EE0: 85383880
	v_mfma_f32_16x16x32_fp8_fp8 v[184:187], a[64:65], v[128:129], 0// 000000007EE4: D3F300B8 0A030140
	v_mfma_f32_16x16x32_fp8_fp8 v[184:187], a[66:67], v[130:131], v[184:187]// 000000007EEC: D3F300B8 0EE30542
	v_mfma_f32_16x16x32_fp8_fp8 v[184:187], a[68:69], v[132:133], v[184:187]// 000000007EF4: D3F300B8 0EE30944
	v_mfma_f32_16x16x32_fp8_fp8 v[184:187], a[70:71], v[134:135], v[184:187]// 000000007EFC: D3F300B8 0EE30D46
	v_mfma_f32_16x16x32_fp8_fp8 v[184:187], a[72:73], v[136:137], v[184:187]// 000000007F04: D3F300B8 0EE31148
	v_mfma_f32_16x16x32_fp8_fp8 v[184:187], a[74:75], v[138:139], v[184:187]// 000000007F0C: D3F300B8 0EE3154A
	v_mfma_f32_16x16x32_fp8_fp8 v[184:187], a[76:77], v[140:141], v[184:187]// 000000007F14: D3F300B8 0EE3194C
	v_mfma_f32_16x16x32_fp8_fp8 v[184:187], a[78:79], v[142:143], v[184:187]// 000000007F1C: D3F300B8 0EE31D4E
	v_mfma_f32_16x16x32_fp8_fp8 v[188:191], a[80:81], v[128:129], 0// 000000007F24: D3F300BC 0A030150
	v_mfma_f32_16x16x32_fp8_fp8 v[188:191], a[82:83], v[130:131], v[188:191]// 000000007F2C: D3F300BC 0EF30552
	v_mfma_f32_16x16x32_fp8_fp8 v[188:191], a[84:85], v[132:133], v[188:191]// 000000007F34: D3F300BC 0EF30954
	v_mfma_f32_16x16x32_fp8_fp8 v[188:191], a[86:87], v[134:135], v[188:191]// 000000007F3C: D3F300BC 0EF30D56
	v_mfma_f32_16x16x32_fp8_fp8 v[188:191], a[88:89], v[136:137], v[188:191]// 000000007F44: D3F300BC 0EF31158
	v_mfma_f32_16x16x32_fp8_fp8 v[188:191], a[90:91], v[138:139], v[188:191]// 000000007F4C: D3F300BC 0EF3155A
	v_mfma_f32_16x16x32_fp8_fp8 v[188:191], a[92:93], v[140:141], v[188:191]// 000000007F54: D3F300BC 0EF3195C
	v_mfma_f32_16x16x32_fp8_fp8 v[188:191], a[94:95], v[142:143], v[188:191]// 000000007F5C: D3F300BC 0EF31D5E
	v_add_u32_e32 v1, s56, v1                                  // 000000007F64: 68020238
	s_addk_i32 s70, 0x100                                      // 000000007F68: B7460100
	s_cmp_lt_i32 s70, s71                                      // 000000007F6C: BF044746
	s_cbranch_scc0 label_1B9C                                  // 000000007F70: BF84043F
	s_waitcnt vmcnt(8) lgkmcnt(0)                              // 000000007F74: BF8C0078
	v_mul_u32_u24_dpp v64, v16, v54 row_newbcast:0 row_mask:0xf bank_mask:0xf// 000000007F78: 10806CFA FF015010
	v_mul_u32_u24_dpp v65, v16, v54 row_newbcast:4 row_mask:0xf bank_mask:0xf// 000000007F80: 10826CFA FF015410
	v_mul_u32_u24_dpp v66, v16, v54 row_newbcast:8 row_mask:0xf bank_mask:0xf// 000000007F88: 10846CFA FF015810
	v_mul_u32_u24_dpp v67, v16, v54 row_newbcast:12 row_mask:0xf bank_mask:0xf// 000000007F90: 10866CFA FF015C10
	v_add_u32_e32 v22, v64, v5                                 // 000000007F98: 682C0B40
	v_add_u32_e32 v23, v65, v5                                 // 000000007F9C: 682E0B41
	v_add_u32_e32 v24, v66, v5                                 // 000000007FA0: 68300B42
	v_add_u32_e32 v25, v67, v5                                 // 000000007FA4: 68320B43
	v_mul_u32_u24_dpp v64, v16, v63 quad_perm:[0,0,0,0] row_mask:0xf bank_mask:0xf// 000000007FA8: 10807EFA FF000010
	v_add_u32_e32 v2, v64, v59                                 // 000000007FB0: 68047740
	v_mul_u32_u24_dpp v64, v16, v63 quad_perm:[0,0,0,0] row_mask:0xf bank_mask:0xf// 000000007FB4: 10807EFA FF000010
	v_add_u32_e32 v55, v64, v60                                // 000000007FBC: 686E7940
	v_mfma_f32_16x16x32_fp8_fp8 v[112:115], a[32:33], v[80:81], 0// 000000007FC0: D3F30070 0A02A120
	v_mfma_f32_16x16x32_fp8_fp8 v[112:115], a[34:35], v[82:83], v[112:115]// 000000007FC8: D3F30070 0DC2A522
	buffer_load_dwordx4 a[0:3], v22, s[16:19], 0 offen         // 000000007FD0: E05C1000 80840016
	v_mfma_f32_16x16x32_fp8_fp8 v[112:115], a[36:37], v[84:85], v[112:115]// 000000007FD8: D3F30070 0DC2A924
	v_mfma_f32_16x16x32_fp8_fp8 v[112:115], a[38:39], v[86:87], v[112:115]// 000000007FE0: D3F30070 0DC2AD26
	buffer_load_dword v17, v1, s[24:27], 0 offen               // 000000007FE8: E0501000 80061101
	v_mfma_f32_16x16x32_fp8_fp8 v[116:119], a[40:41], v[80:81], 0// 000000007FF0: D3F30074 0A02A128
	v_mfma_f32_16x16x32_fp8_fp8 v[116:119], a[42:43], v[82:83], v[116:119]// 000000007FF8: D3F30074 0DD2A52A
	buffer_load_dwordx4 a[4:7], v22, s[16:19], 0 offen offset:1024// 000000008000: E05C1400 80840416
	v_mfma_f32_16x16x32_fp8_fp8 v[116:119], a[44:45], v[84:85], v[116:119]// 000000008008: D3F30074 0DD2A92C
	v_mfma_f32_16x16x32_fp8_fp8 v[116:119], a[46:47], v[86:87], v[116:119]// 000000008010: D3F30074 0DD2AD2E
	v_mfma_f32_16x16x32_fp8_fp8 v[120:123], a[48:49], v[80:81], 0// 000000008018: D3F30078 0A02A130
	v_mfma_f32_16x16x32_fp8_fp8 v[120:123], a[50:51], v[82:83], v[120:123]// 000000008020: D3F30078 0DE2A532
	buffer_load_dwordx4 a[8:11], v23, s[16:19], 0 offen        // 000000008028: E05C1000 80840817
	v_mfma_f32_16x16x32_fp8_fp8 v[120:123], a[52:53], v[84:85], v[120:123]// 000000008030: D3F30078 0DE2A934
	v_mfma_f32_16x16x32_fp8_fp8 v[120:123], a[54:55], v[86:87], v[120:123]// 000000008038: D3F30078 0DE2AD36
	v_mfma_f32_16x16x32_fp8_fp8 v[124:127], a[56:57], v[80:81], 0// 000000008040: D3F3007C 0A02A138
	v_mfma_f32_16x16x32_fp8_fp8 v[124:127], a[58:59], v[82:83], v[124:127]// 000000008048: D3F3007C 0DF2A53A
	buffer_load_dwordx4 a[12:15], v23, s[16:19], 0 offen offset:1024// 000000008050: E05C1400 80840C17
	v_mfma_f32_16x16x32_fp8_fp8 v[124:127], a[60:61], v[84:85], v[124:127]// 000000008058: D3F3007C 0DF2A93C
	v_mfma_f32_16x16x32_fp8_fp8 v[124:127], a[62:63], v[86:87], v[124:127]// 000000008060: D3F3007C 0DF2AD3E
	v_mfma_f32_16x16x32_fp8_fp8 v[128:131], a[32:33], v[88:89], 0// 000000008068: D3F30080 0A02B120
	v_mfma_f32_16x16x32_fp8_fp8 v[128:131], a[34:35], v[90:91], v[128:131]// 000000008070: D3F30080 0E02B522
	v_mfma_f32_16x16x32_fp8_fp8 v[128:131], a[36:37], v[92:93], v[128:131]// 000000008078: D3F30080 0E02B924
	v_mfma_f32_16x16x32_fp8_fp8 v[128:131], a[38:39], v[94:95], v[128:131]// 000000008080: D3F30080 0E02BD26
	v_mfma_f32_16x16x32_fp8_fp8 v[132:135], a[40:41], v[88:89], 0// 000000008088: D3F30084 0A02B128
	v_mfma_f32_16x16x32_fp8_fp8 v[132:135], a[42:43], v[90:91], v[132:135]// 000000008090: D3F30084 0E12B52A
	v_mfma_f32_16x16x32_fp8_fp8 v[132:135], a[44:45], v[92:93], v[132:135]// 000000008098: D3F30084 0E12B92C
	v_mfma_f32_16x16x32_fp8_fp8 v[132:135], a[46:47], v[94:95], v[132:135]// 0000000080A0: D3F30084 0E12BD2E
	v_mfma_f32_16x16x32_fp8_fp8 v[136:139], a[48:49], v[88:89], 0// 0000000080A8: D3F30088 0A02B130
	v_mfma_f32_16x16x32_fp8_fp8 v[136:139], a[50:51], v[90:91], v[136:139]// 0000000080B0: D3F30088 0E22B532
	v_mfma_f32_16x16x32_fp8_fp8 v[136:139], a[52:53], v[92:93], v[136:139]// 0000000080B8: D3F30088 0E22B934
	v_mfma_f32_16x16x32_fp8_fp8 v[136:139], a[54:55], v[94:95], v[136:139]// 0000000080C0: D3F30088 0E22BD36
	v_mfma_f32_16x16x32_fp8_fp8 v[140:143], a[56:57], v[88:89], 0// 0000000080C8: D3F3008C 0A02B138
	v_mfma_f32_16x16x32_fp8_fp8 v[140:143], a[58:59], v[90:91], v[140:143]// 0000000080D0: D3F3008C 0E32B53A
	v_mfma_f32_16x16x32_fp8_fp8 v[140:143], a[60:61], v[92:93], v[140:143]// 0000000080D8: D3F3008C 0E32B93C
	v_mfma_f32_16x16x32_fp8_fp8 v[140:143], a[62:63], v[94:95], v[140:143]// 0000000080E0: D3F3008C 0E32BD3E
	buffer_load_dword v42, v2, s[32:35], 0 offen               // 0000000080E8: E0501000 80082A02
	v_mov_b32_dpp v64, v43 row_shr:4 row_mask:0xf bank_mask:0xf// 0000000080F0: 7E8002FA FF01142B
	v_mov_b32_dpp v65, v43 row_shl:4 row_mask:0xf bank_mask:0xf// 0000000080F8: 7E8202FA FF01042B
	v_cndmask_b32_e64 v248, v43, v64, s[44:45]                 // 000000008100: D10000F8 00B2812B
	v_cndmask_b32_e64 v249, v65, v43, s[44:45]                 // 000000008108: D10000F9 00B25741
	v_mov_b32_dpp v64, v248 row_shr:8 row_mask:0xf bank_mask:0xf// 000000008110: 7E8002FA FF0118F8
	v_mov_b32_dpp v65, v248 row_shl:8 row_mask:0xf bank_mask:0xf// 000000008118: 7E8202FA FF0108F8
	v_mov_b32_dpp v66, v249 row_shr:8 row_mask:0xf bank_mask:0xf// 000000008120: 7E8402FA FF0118F9
	v_mov_b32_dpp v67, v249 row_shl:8 row_mask:0xf bank_mask:0xf// 000000008128: 7E8602FA FF0108F9
	v_mov_b32_e32 v68, v248                                    // 000000008130: 7E8803F8
	v_mov_b32_e32 v69, v249                                    // 000000008134: 7E8A03F9
	v_cndmask_b32_e64 v248, v68, v64, s[42:43]                 // 000000008138: D10000F8 00AA8144
	v_cndmask_b32_e64 v250, v68, v65, s[78:79]                 // 000000008140: D10000FA 013A8344
	v_cndmask_b32_e64 v249, v69, v66, s[42:43]                 // 000000008148: D10000F9 00AA8545
	v_cndmask_b32_e64 v251, v69, v67, s[78:79]                 // 000000008150: D10000FB 013A8745
	v_mov_b32_dpp v64, v58 row_shr:4 row_mask:0xf bank_mask:0xf// 000000008158: 7E8002FA FF01143A
	v_mov_b32_dpp v65, v58 row_shl:4 row_mask:0xf bank_mask:0xf// 000000008160: 7E8202FA FF01043A
	v_cndmask_b32_e64 v252, v58, v64, s[44:45]                 // 000000008168: D10000FC 00B2813A
	v_cndmask_b32_e64 v253, v65, v58, s[44:45]                 // 000000008170: D10000FD 00B27541
	v_mov_b32_dpp v64, v252 row_shr:8 row_mask:0xf bank_mask:0xf// 000000008178: 7E8002FA FF0118FC
	v_mov_b32_dpp v65, v252 row_shl:8 row_mask:0xf bank_mask:0xf// 000000008180: 7E8202FA FF0108FC
	v_mov_b32_dpp v66, v253 row_shr:8 row_mask:0xf bank_mask:0xf// 000000008188: 7E8402FA FF0118FD
	v_mov_b32_dpp v67, v253 row_shl:8 row_mask:0xf bank_mask:0xf// 000000008190: 7E8602FA FF0108FD
	v_mov_b32_e32 v68, v252                                    // 000000008198: 7E8803FC
	v_mov_b32_e32 v69, v253                                    // 00000000819C: 7E8A03FD
	v_cndmask_b32_e64 v252, v68, v64, s[42:43]                 // 0000000081A0: D10000FC 00AA8144
	v_cndmask_b32_e64 v254, v68, v65, s[78:79]                 // 0000000081A8: D10000FE 013A8344
	v_cndmask_b32_e64 v253, v69, v66, s[42:43]                 // 0000000081B0: D10000FD 00AA8545
	v_cndmask_b32_e64 v255, v69, v67, s[78:79]                 // 0000000081B8: D10000FF 013A8745
	buffer_load_dword v57, v55, s[36:39], 0 offen              // 0000000081C0: E0501000 80093937
	v_mul_f32_e32 v112, v18, v112                              // 0000000081C8: 0AE0E112
	v_mul_f32_e32 v113, v18, v113                              // 0000000081CC: 0AE2E312
	v_mul_f32_e32 v114, v18, v114                              // 0000000081D0: 0AE4E512
	v_mul_f32_e32 v115, v18, v115                              // 0000000081D4: 0AE6E712
	v_mul_f32_e32 v116, v18, v116                              // 0000000081D8: 0AE8E912
	v_mul_f32_e32 v117, v18, v117                              // 0000000081DC: 0AEAEB12
	v_mul_f32_e32 v118, v18, v118                              // 0000000081E0: 0AECED12
	v_mul_f32_e32 v119, v18, v119                              // 0000000081E4: 0AEEEF12
	v_mul_f32_e32 v120, v18, v120                              // 0000000081E8: 0AF0F112
	v_mul_f32_e32 v121, v18, v121                              // 0000000081EC: 0AF2F312
	v_mul_f32_e32 v122, v18, v122                              // 0000000081F0: 0AF4F512
	v_mul_f32_e32 v123, v18, v123                              // 0000000081F4: 0AF6F712
	v_mul_f32_e32 v124, v18, v124                              // 0000000081F8: 0AF8F912
	v_mul_f32_e32 v125, v18, v125                              // 0000000081FC: 0AFAFB12
	v_mul_f32_e32 v126, v18, v126                              // 000000008200: 0AFCFD12
	v_mul_f32_e32 v127, v18, v127                              // 000000008204: 0AFEFF12
	buffer_load_dwordx4 a[16:19], v24, s[16:19], 0 offen       // 000000008208: E05C1000 80841018
	v_mul_f32_dpp v112, v248, v112 quad_perm:[0,0,0,0] row_mask:0xf bank_mask:0xf// 000000008210: 0AE0E0FA FF0000F8
	v_mul_f32_dpp v113, v248, v113 quad_perm:[1,1,1,1] row_mask:0xf bank_mask:0xf// 000000008218: 0AE2E2FA FF0055F8
	v_mul_f32_dpp v114, v248, v114 quad_perm:[2,2,2,2] row_mask:0xf bank_mask:0xf// 000000008220: 0AE4E4FA FF00AAF8
	v_mul_f32_dpp v115, v248, v115 quad_perm:[3,3,3,3] row_mask:0xf bank_mask:0xf// 000000008228: 0AE6E6FA FF00FFF8
	v_mul_f32_dpp v116, v249, v116 quad_perm:[0,0,0,0] row_mask:0xf bank_mask:0xf// 000000008230: 0AE8E8FA FF0000F9
	v_mul_f32_dpp v117, v249, v117 quad_perm:[1,1,1,1] row_mask:0xf bank_mask:0xf// 000000008238: 0AEAEAFA FF0055F9
	v_mul_f32_dpp v118, v249, v118 quad_perm:[2,2,2,2] row_mask:0xf bank_mask:0xf// 000000008240: 0AECECFA FF00AAF9
	v_mul_f32_dpp v119, v249, v119 quad_perm:[3,3,3,3] row_mask:0xf bank_mask:0xf// 000000008248: 0AEEEEFA FF00FFF9
	v_mul_f32_dpp v120, v250, v120 quad_perm:[0,0,0,0] row_mask:0xf bank_mask:0xf// 000000008250: 0AF0F0FA FF0000FA
	v_mul_f32_dpp v121, v250, v121 quad_perm:[1,1,1,1] row_mask:0xf bank_mask:0xf// 000000008258: 0AF2F2FA FF0055FA
	v_mul_f32_dpp v122, v250, v122 quad_perm:[2,2,2,2] row_mask:0xf bank_mask:0xf// 000000008260: 0AF4F4FA FF00AAFA
	v_mul_f32_dpp v123, v250, v123 quad_perm:[3,3,3,3] row_mask:0xf bank_mask:0xf// 000000008268: 0AF6F6FA FF00FFFA
	v_mul_f32_dpp v124, v251, v124 quad_perm:[0,0,0,0] row_mask:0xf bank_mask:0xf// 000000008270: 0AF8F8FA FF0000FB
	v_mul_f32_dpp v125, v251, v125 quad_perm:[1,1,1,1] row_mask:0xf bank_mask:0xf// 000000008278: 0AFAFAFA FF0055FB
	v_mul_f32_dpp v126, v251, v126 quad_perm:[2,2,2,2] row_mask:0xf bank_mask:0xf// 000000008280: 0AFCFCFA FF00AAFB
	v_mul_f32_dpp v127, v251, v127 quad_perm:[3,3,3,3] row_mask:0xf bank_mask:0xf// 000000008288: 0AFEFEFA FF00FFFB
	buffer_load_dwordx4 a[20:23], v24, s[16:19], 0 offen offset:1024// 000000008290: E05C1400 80841418
	v_mov_b32_e32 v48, v112                                    // 000000008298: 7E600370
	v_max3_f32 v48, v112, v113, v48                            // 00000000829C: D1D30030 04C2E370
	v_max3_f32 v48, v114, v115, v48                            // 0000000082A4: D1D30030 04C2E772
	v_max3_f32 v48, v116, v117, v48                            // 0000000082AC: D1D30030 04C2EB74
	v_max3_f32 v48, v118, v119, v48                            // 0000000082B4: D1D30030 04C2EF76
	v_max3_f32 v48, v120, v121, v48                            // 0000000082BC: D1D30030 04C2F378
	v_max3_f32 v48, v122, v123, v48                            // 0000000082C4: D1D30030 04C2F77A
	v_max3_f32 v48, v124, v125, v48                            // 0000000082CC: D1D30030 04C2FB7C
	v_max3_f32 v48, v126, v127, v48                            // 0000000082D4: D1D30030 04C2FF7E
	ds_write_b32 v8, v48 offset:16896                          // 0000000082DC: D81A4200 00003008
	buffer_load_dwordx4 a[24:27], v25, s[16:19], 0 offen       // 0000000082E4: E05C1000 80841819
	v_mul_u32_u24_dpp v64, v16, v54 row_newbcast:1 row_mask:0xf bank_mask:0xf// 0000000082EC: 10806CFA FF015110
	v_mul_u32_u24_dpp v65, v16, v54 row_newbcast:5 row_mask:0xf bank_mask:0xf// 0000000082F4: 10826CFA FF015510
	v_mul_u32_u24_dpp v66, v16, v54 row_newbcast:9 row_mask:0xf bank_mask:0xf// 0000000082FC: 10846CFA FF015910
	v_mul_u32_u24_dpp v67, v16, v54 row_newbcast:13 row_mask:0xf bank_mask:0xf// 000000008304: 10866CFA FF015D10
	v_add_u32_e32 v30, v64, v6                                 // 00000000830C: 683C0D40
	v_add_u32_e32 v31, v65, v6                                 // 000000008310: 683E0D41
	v_add_u32_e32 v32, v66, v6                                 // 000000008314: 68400D42
	v_add_u32_e32 v33, v67, v6                                 // 000000008318: 68420D43
	v_mul_f32_e32 v208, v49, v208                              // 00000000831C: 0BA1A131
	v_mul_f32_e32 v209, v49, v209                              // 000000008320: 0BA3A331
	v_mul_f32_e32 v210, v49, v210                              // 000000008324: 0BA5A531
	v_mul_f32_e32 v211, v49, v211                              // 000000008328: 0BA7A731
	v_mul_f32_e32 v212, v49, v212                              // 00000000832C: 0BA9A931
	v_mul_f32_e32 v213, v49, v213                              // 000000008330: 0BABAB31
	v_mul_f32_e32 v214, v49, v214                              // 000000008334: 0BADAD31
	v_mul_f32_e32 v215, v49, v215                              // 000000008338: 0BAFAF31
	s_waitcnt lgkmcnt(0)                                       // 00000000833C: BF8CC07F
	s_barrier                                                  // 000000008340: BF8A0000
	ds_read_b32 v64, v7 offset:16896                           // 000000008344: D86C4200 40000007
	ds_read_b32 v65, v7 offset:16960                           // 00000000834C: D86C4240 41000007
	ds_read_b32 v66, v7 offset:17024                           // 000000008354: D86C4280 42000007
	ds_read_b32 v67, v7 offset:17088                           // 00000000835C: D86C42C0 43000007
	ds_read_b32 v68, v7 offset:17152                           // 000000008364: D86C4300 44000007
	ds_read_b32 v69, v7 offset:17216                           // 00000000836C: D86C4340 45000007
	ds_read_b32 v70, v7 offset:17280                           // 000000008374: D86C4380 46000007
	ds_read_b32 v71, v7 offset:17344                           // 00000000837C: D86C43C0 47000007
	ds_read_b32 v72, v7 offset:17408                           // 000000008384: D86C4400 48000007
	ds_read_b32 v73, v7 offset:17472                           // 00000000838C: D86C4440 49000007
	ds_read_b32 v74, v7 offset:17536                           // 000000008394: D86C4480 4A000007
	ds_read_b32 v75, v7 offset:17600                           // 00000000839C: D86C44C0 4B000007
	ds_read_b32 v76, v7 offset:17664                           // 0000000083A4: D86C4500 4C000007
	ds_read_b32 v77, v7 offset:17728                           // 0000000083AC: D86C4540 4D000007
	ds_read_b32 v78, v7 offset:17792                           // 0000000083B4: D86C4580 4E000007
	ds_read_b32 v79, v7 offset:17856                           // 0000000083BC: D86C45C0 4F000007
	buffer_load_dwordx4 a[28:31], v25, s[16:19], 0 offen offset:1024// 0000000083C4: E05C1400 80841C19
	v_mul_f32_e32 v176, v44, v176                              // 0000000083CC: 0B61612C
	v_mul_f32_e32 v177, v44, v177                              // 0000000083D0: 0B63632C
	v_mul_f32_e32 v178, v44, v178                              // 0000000083D4: 0B65652C
	v_mul_f32_e32 v179, v44, v179                              // 0000000083D8: 0B67672C
	v_mul_f32_e32 v180, v44, v180                              // 0000000083DC: 0B69692C
	v_mul_f32_e32 v181, v44, v181                              // 0000000083E0: 0B6B6B2C
	v_mul_f32_e32 v182, v44, v182                              // 0000000083E4: 0B6D6D2C
	v_mul_f32_e32 v183, v44, v183                              // 0000000083E8: 0B6F6F2C
	s_waitcnt lgkmcnt(0)                                       // 0000000083EC: BF8CC07F
	v_max3_f32 v48, v64, v65, v48                              // 0000000083F0: D1D30030 04C28340
	v_max3_f32 v48, v66, v67, v48                              // 0000000083F8: D1D30030 04C28742
	v_max3_f32 v48, v68, v69, v48                              // 000000008400: D1D30030 04C28B44
	v_max3_f32 v48, v70, v71, v48                              // 000000008408: D1D30030 04C28F46
	v_max3_f32 v48, v72, v73, v48                              // 000000008410: D1D30030 04C29348
	v_max3_f32 v48, v74, v75, v48                              // 000000008418: D1D30030 04C2974A
	v_max3_f32 v48, v76, v77, v48                              // 000000008420: D1D30030 04C29B4C
	v_max3_f32 v48, v78, v79, v48                              // 000000008428: D1D30030 04C29F4E
	buffer_load_dwordx4 a[64:67], v30, s[20:23], 0 offen       // 000000008430: E05C1000 8085401E
	v_mov_b32_e32 v64, 0xff800000                              // 000000008438: 7E8002FF FF800000
	v_cmp_eq_u32_e64 s[40:41], v64, v11                        // 000000008440: D0CA0028 00021740
	s_nop 1                                                    // 000000008448: BF800001
	v_max_f32_e32 v15, v48, v11                                // 00000000844C: 161E1730
	v_mul_f32_e32 v53, s64, v15                                // 000000008450: 0A6A1E40
	v_fma_f32 v112, v112, s64, -v53                            // 000000008454: D1CB0070 84D48170
	v_fma_f32 v113, v113, s64, -v53                            // 00000000845C: D1CB0071 84D48171
	v_fma_f32 v114, v114, s64, -v53                            // 000000008464: D1CB0072 84D48172
	v_fma_f32 v115, v115, s64, -v53                            // 00000000846C: D1CB0073 84D48173
	v_fma_f32 v116, v116, s64, -v53                            // 000000008474: D1CB0074 84D48174
	v_fma_f32 v117, v117, s64, -v53                            // 00000000847C: D1CB0075 84D48175
	v_fma_f32 v118, v118, s64, -v53                            // 000000008484: D1CB0076 84D48176
	v_fma_f32 v119, v119, s64, -v53                            // 00000000848C: D1CB0077 84D48177
	v_fma_f32 v120, v120, s64, -v53                            // 000000008494: D1CB0078 84D48178
	v_fma_f32 v121, v121, s64, -v53                            // 00000000849C: D1CB0079 84D48179
	v_fma_f32 v122, v122, s64, -v53                            // 0000000084A4: D1CB007A 84D4817A
	v_fma_f32 v123, v123, s64, -v53                            // 0000000084AC: D1CB007B 84D4817B
	v_fma_f32 v124, v124, s64, -v53                            // 0000000084B4: D1CB007C 84D4817C
	v_fma_f32 v125, v125, s64, -v53                            // 0000000084BC: D1CB007D 84D4817D
	v_fma_f32 v126, v126, s64, -v53                            // 0000000084C4: D1CB007E 84D4817E
	v_fma_f32 v127, v127, s64, -v53                            // 0000000084CC: D1CB007F 84D4817F
	buffer_load_dwordx4 a[68:71], v31, s[20:23], 0 offen       // 0000000084D4: E05C1000 8085441F
	v_exp_f32_e32 v112, v112                                   // 0000000084DC: 7EE04170
	v_exp_f32_e32 v113, v113                                   // 0000000084E0: 7EE24171
	v_exp_f32_e32 v114, v114                                   // 0000000084E4: 7EE44172
	v_exp_f32_e32 v115, v115                                   // 0000000084E8: 7EE64173
	v_exp_f32_e32 v116, v116                                   // 0000000084EC: 7EE84174
	v_exp_f32_e32 v117, v117                                   // 0000000084F0: 7EEA4175
	v_exp_f32_e32 v118, v118                                   // 0000000084F4: 7EEC4176
	v_exp_f32_e32 v119, v119                                   // 0000000084F8: 7EEE4177
	v_exp_f32_e32 v120, v120                                   // 0000000084FC: 7EF04178
	v_exp_f32_e32 v121, v121                                   // 000000008500: 7EF24179
	v_exp_f32_e32 v122, v122                                   // 000000008504: 7EF4417A
	v_exp_f32_e32 v123, v123                                   // 000000008508: 7EF6417B
	v_exp_f32_e32 v124, v124                                   // 00000000850C: 7EF8417C
	v_exp_f32_e32 v125, v125                                   // 000000008510: 7EFA417D
	v_exp_f32_e32 v126, v126                                   // 000000008514: 7EFC417E
	v_exp_f32_e32 v127, v127                                   // 000000008518: 7EFE417F
	buffer_load_dwordx4 a[72:75], v32, s[20:23], 0 offen       // 00000000851C: E05C1000 80854820
	v_mul_f32_dpp v240, v252, v112 quad_perm:[0,0,0,0] row_mask:0xf bank_mask:0xf// 000000008524: 0BE0E0FA FF0000FC
	v_mul_f32_dpp v241, v252, v113 quad_perm:[1,1,1,1] row_mask:0xf bank_mask:0xf// 00000000852C: 0BE2E2FA FF0055FC
	v_mul_f32_dpp v242, v252, v114 quad_perm:[2,2,2,2] row_mask:0xf bank_mask:0xf// 000000008534: 0BE4E4FA FF00AAFC
	v_mul_f32_dpp v243, v252, v115 quad_perm:[3,3,3,3] row_mask:0xf bank_mask:0xf// 00000000853C: 0BE6E6FA FF00FFFC
	v_mul_f32_dpp v244, v253, v116 quad_perm:[0,0,0,0] row_mask:0xf bank_mask:0xf// 000000008544: 0BE8E8FA FF0000FD
	v_mul_f32_dpp v245, v253, v117 quad_perm:[1,1,1,1] row_mask:0xf bank_mask:0xf// 00000000854C: 0BEAEAFA FF0055FD
	v_mul_f32_dpp v246, v253, v118 quad_perm:[2,2,2,2] row_mask:0xf bank_mask:0xf// 000000008554: 0BECECFA FF00AAFD
	v_mul_f32_dpp v247, v253, v119 quad_perm:[3,3,3,3] row_mask:0xf bank_mask:0xf// 00000000855C: 0BEEEEFA FF00FFFD
	v_mul_f32_dpp v248, v254, v120 quad_perm:[0,0,0,0] row_mask:0xf bank_mask:0xf// 000000008564: 0BF0F0FA FF0000FE
	v_mul_f32_dpp v249, v254, v121 quad_perm:[1,1,1,1] row_mask:0xf bank_mask:0xf// 00000000856C: 0BF2F2FA FF0055FE
	v_mul_f32_dpp v250, v254, v122 quad_perm:[2,2,2,2] row_mask:0xf bank_mask:0xf// 000000008574: 0BF4F4FA FF00AAFE
	v_mul_f32_dpp v251, v254, v123 quad_perm:[3,3,3,3] row_mask:0xf bank_mask:0xf// 00000000857C: 0BF6F6FA FF00FFFE
	v_mul_f32_dpp v252, v255, v124 quad_perm:[0,0,0,0] row_mask:0xf bank_mask:0xf// 000000008584: 0BF8F8FA FF0000FF
	v_mul_f32_dpp v253, v255, v125 quad_perm:[1,1,1,1] row_mask:0xf bank_mask:0xf// 00000000858C: 0BFAFAFA FF0055FF
	v_mul_f32_dpp v254, v255, v126 quad_perm:[2,2,2,2] row_mask:0xf bank_mask:0xf// 000000008594: 0BFCFCFA FF00AAFF
	v_mul_f32_dpp v255, v255, v127 quad_perm:[3,3,3,3] row_mask:0xf bank_mask:0xf// 00000000859C: 0BFEFEFA FF00FFFF
	v_mov_b32_e32 v48, 0x358637bd                              // 0000000085A4: 7E6002FF 358637BD
	v_max3_f32 v48, |v240|, |v241|, v48                        // 0000000085AC: D1D30330 04C3E3F0
	v_max3_f32 v48, |v242|, |v243|, v48                        // 0000000085B4: D1D30330 04C3E7F2
	v_max3_f32 v48, |v244|, |v245|, v48                        // 0000000085BC: D1D30330 04C3EBF4
	v_max3_f32 v48, |v246|, |v247|, v48                        // 0000000085C4: D1D30330 04C3EFF6
	v_max3_f32 v48, |v248|, |v249|, v48                        // 0000000085CC: D1D30330 04C3F3F8
	v_max3_f32 v48, |v250|, |v251|, v48                        // 0000000085D4: D1D30330 04C3F7FA
	v_max3_f32 v48, |v252|, |v253|, v48                        // 0000000085DC: D1D30330 04C3FBFC
	v_max3_f32 v48, |v254|, |v255|, v48                        // 0000000085E4: D1D30330 04C3FFFE
	buffer_load_dwordx4 a[76:79], v33, s[20:23], 0 offen       // 0000000085EC: E05C1000 80854C21
	ds_write_b32 v8, v48 offset:20992                          // 0000000085F4: D81A5200 00003008
	v_sub_f32_e32 v49, v11, v15                                // 0000000085FC: 04621F0B
	v_cndmask_b32_e64 v49, v49, 0, s[40:41]                    // 000000008600: D1000031 00A10131
	v_mov_b32_e32 v11, v15                                     // 000000008608: 7E16030F
	v_mul_f32_e32 v49, s64, v49                                // 00000000860C: 0A626240
	v_exp_f32_e32 v49, v49                                     // 000000008610: 7E624131
	s_waitcnt lgkmcnt(0)                                       // 000000008614: BF8CC07F
	s_barrier                                                  // 000000008618: BF8A0000
	ds_read_b32 v64, v7 offset:20992                           // 00000000861C: D86C5200 40000007
	ds_read_b32 v65, v7 offset:21056                           // 000000008624: D86C5240 41000007
	ds_read_b32 v66, v7 offset:21120                           // 00000000862C: D86C5280 42000007
	ds_read_b32 v67, v7 offset:21184                           // 000000008634: D86C52C0 43000007
	ds_read_b32 v68, v7 offset:21248                           // 00000000863C: D86C5300 44000007
	ds_read_b32 v69, v7 offset:21312                           // 000000008644: D86C5340 45000007
	ds_read_b32 v70, v7 offset:21376                           // 00000000864C: D86C5380 46000007
	ds_read_b32 v71, v7 offset:21440                           // 000000008654: D86C53C0 47000007
	ds_read_b32 v72, v7 offset:21504                           // 00000000865C: D86C5400 48000007
	ds_read_b32 v73, v7 offset:21568                           // 000000008664: D86C5440 49000007
	ds_read_b32 v74, v7 offset:21632                           // 00000000866C: D86C5480 4A000007
	ds_read_b32 v75, v7 offset:21696                           // 000000008674: D86C54C0 4B000007
	ds_read_b32 v76, v7 offset:21760                           // 00000000867C: D86C5500 4C000007
	ds_read_b32 v77, v7 offset:21824                           // 000000008684: D86C5540 4D000007
	ds_read_b32 v78, v7 offset:21888                           // 00000000868C: D86C5580 4E000007
	ds_read_b32 v79, v7 offset:21952                           // 000000008694: D86C55C0 4F000007
	v_mul_f32_e32 v38, v49, v38                                // 00000000869C: 0A4C4D31
	v_mov_b32_e32 v15, v112                                    // 0000000086A0: 7E1E0370
	v_add_f32_e32 v15, v113, v15                               // 0000000086A4: 021E1F71
	v_add_f32_e32 v15, v114, v15                               // 0000000086A8: 021E1F72
	v_add_f32_e32 v15, v115, v15                               // 0000000086AC: 021E1F73
	v_add_f32_e32 v15, v116, v15                               // 0000000086B0: 021E1F74
	v_add_f32_e32 v15, v117, v15                               // 0000000086B4: 021E1F75
	v_add_f32_e32 v15, v118, v15                               // 0000000086B8: 021E1F76
	v_add_f32_e32 v15, v119, v15                               // 0000000086BC: 021E1F77
	v_add_f32_e32 v15, v120, v15                               // 0000000086C0: 021E1F78
	v_add_f32_e32 v15, v121, v15                               // 0000000086C4: 021E1F79
	v_add_f32_e32 v15, v122, v15                               // 0000000086C8: 021E1F7A
	v_add_f32_e32 v15, v123, v15                               // 0000000086CC: 021E1F7B
	v_add_f32_e32 v15, v124, v15                               // 0000000086D0: 021E1F7C
	v_add_f32_e32 v15, v125, v15                               // 0000000086D4: 021E1F7D
	v_add_f32_e32 v15, v126, v15                               // 0000000086D8: 021E1F7E
	v_add_f32_e32 v15, v127, v15                               // 0000000086DC: 021E1F7F
	v_add_f32_e32 v38, v15, v38                                // 0000000086E0: 024C4D0F
	s_waitcnt lgkmcnt(0)                                       // 0000000086E4: BF8CC07F
	v_max3_f32 v48, |v64|, |v65|, v48                          // 0000000086E8: D1D30330 04C28340
	v_max3_f32 v48, |v66|, |v67|, v48                          // 0000000086F0: D1D30330 04C28742
	v_max3_f32 v48, |v68|, |v69|, v48                          // 0000000086F8: D1D30330 04C28B44
	v_max3_f32 v48, |v70|, |v71|, v48                          // 000000008700: D1D30330 04C28F46
	v_max3_f32 v48, |v72|, |v73|, v48                          // 000000008708: D1D30330 04C29348
	v_max3_f32 v48, |v74|, |v75|, v48                          // 000000008710: D1D30330 04C2974A
	v_max3_f32 v48, |v76|, |v77|, v48                          // 000000008718: D1D30330 04C29B4C
	v_max3_f32 v48, |v78|, |v79|, v48                          // 000000008720: D1D30330 04C29F4E
	s_nop 2                                                    // 000000008728: BF800002
	v_rcp_f32_e32 v48, v48                                     // 00000000872C: 7E604530
	s_nop 1                                                    // 000000008730: BF800001
	v_mul_f32_e32 v48, 0x43e00000, v48                         // 000000008734: 0A6060FF 43E00000
	v_mul_f32_e32 v112, v48, v240                              // 00000000873C: 0AE1E130
	v_mul_f32_e32 v113, v48, v241                              // 000000008740: 0AE3E330
	v_mul_f32_e32 v114, v48, v242                              // 000000008744: 0AE5E530
	v_mul_f32_e32 v115, v48, v243                              // 000000008748: 0AE7E730
	v_mul_f32_e32 v116, v48, v244                              // 00000000874C: 0AE9E930
	v_mul_f32_e32 v117, v48, v245                              // 000000008750: 0AEBEB30
	v_mul_f32_e32 v118, v48, v246                              // 000000008754: 0AEDED30
	v_mul_f32_e32 v119, v48, v247                              // 000000008758: 0AEFEF30
	v_mul_f32_e32 v120, v48, v248                              // 00000000875C: 0AF1F130
	v_mul_f32_e32 v121, v48, v249                              // 000000008760: 0AF3F330
	v_mul_f32_e32 v122, v48, v250                              // 000000008764: 0AF5F530
	v_mul_f32_e32 v123, v48, v251                              // 000000008768: 0AF7F730
	v_mul_f32_e32 v124, v48, v252                              // 00000000876C: 0AF9F930
	v_mul_f32_e32 v125, v48, v253                              // 000000008770: 0AFBFB30
	v_mul_f32_e32 v126, v48, v254                              // 000000008774: 0AFDFD30
	v_mul_f32_e32 v127, v48, v255                              // 000000008778: 0AFFFF30
	v_cvt_pk_fp8_f32 v112, v112, v113                          // 00000000877C: D2A20070 0002E370
	v_cvt_pk_fp8_f32 v112, v114, v115 op_sel:[0,0,1]           // 000000008784: D2A24070 0002E772
	v_cvt_pk_fp8_f32 v113, v116, v117                          // 00000000878C: D2A20071 0002EB74
	v_cvt_pk_fp8_f32 v113, v118, v119 op_sel:[0,0,1]           // 000000008794: D2A24071 0002EF76
	v_cvt_pk_fp8_f32 v114, v120, v121                          // 00000000879C: D2A20072 0002F378
	v_cvt_pk_fp8_f32 v114, v122, v123 op_sel:[0,0,1]           // 0000000087A4: D2A24072 0002F77A
	v_cvt_pk_fp8_f32 v115, v124, v125                          // 0000000087AC: D2A20073 0002FB7C
	v_cvt_pk_fp8_f32 v115, v126, v127 op_sel:[0,0,1]           // 0000000087B4: D2A24073 0002FF7E
	ds_write_b32 v10, v112 offset:25088                        // 0000000087BC: D81A6200 0000700A
	ds_write_b32 v10, v113 offset:26112                        // 0000000087C4: D81A6600 0000710A
	ds_write_b32 v10, v114 offset:27136                        // 0000000087CC: D81A6A00 0000720A
	ds_write_b32 v10, v115 offset:28160                        // 0000000087D4: D81A6E00 0000730A
	v_add_f32_e32 v208, v208, v176                             // 0000000087DC: 03A161D0
	v_add_f32_e32 v209, v209, v177                             // 0000000087E0: 03A363D1
	v_add_f32_e32 v210, v210, v178                             // 0000000087E4: 03A565D2
	v_add_f32_e32 v211, v211, v179                             // 0000000087E8: 03A767D3
	v_add_f32_e32 v212, v212, v180                             // 0000000087EC: 03A969D4
	v_add_f32_e32 v213, v213, v181                             // 0000000087F0: 03AB6BD5
	v_add_f32_e32 v214, v214, v182                             // 0000000087F4: 03AD6DD6
	v_add_f32_e32 v215, v215, v183                             // 0000000087F8: 03AF6FD7
	v_rcp_f32_e32 v44, v48                                     // 0000000087FC: 7E584530
	s_waitcnt lgkmcnt(0)                                       // 000000008800: BF8CC07F
	s_barrier                                                  // 000000008804: BF8A0000
	ds_read_b64 v[112:113], v9 offset:25088                    // 000000008808: D8EC6200 70000009
	ds_read_b64 v[114:115], v9 offset:25216                    // 000000008810: D8EC6280 72000009
	ds_read_b64 v[116:117], v9 offset:26112                    // 000000008818: D8EC6600 74000009
	ds_read_b64 v[118:119], v9 offset:26240                    // 000000008820: D8EC6680 76000009
	ds_read_b64 v[120:121], v9 offset:27136                    // 000000008828: D8EC6A00 78000009
	ds_read_b64 v[122:123], v9 offset:27264                    // 000000008830: D8EC6A80 7A000009
	ds_read_b64 v[124:125], v9 offset:28160                    // 000000008838: D8EC6E00 7C000009
	ds_read_b64 v[126:127], v9 offset:28288                    // 000000008840: D8EC6E80 7E000009
	v_mov_b32_dpp v64, v43 row_shr:4 row_mask:0xf bank_mask:0xf// 000000008848: 7E8002FA FF01142B
	v_mov_b32_dpp v65, v43 row_shl:4 row_mask:0xf bank_mask:0xf// 000000008850: 7E8202FA FF01042B
	v_cndmask_b32_e64 v248, v43, v64, s[44:45]                 // 000000008858: D10000F8 00B2812B
	v_cndmask_b32_e64 v249, v65, v43, s[44:45]                 // 000000008860: D10000F9 00B25741
	v_mov_b32_dpp v64, v248 row_shr:8 row_mask:0xf bank_mask:0xf// 000000008868: 7E8002FA FF0118F8
	v_mov_b32_dpp v65, v248 row_shl:8 row_mask:0xf bank_mask:0xf// 000000008870: 7E8202FA FF0108F8
	v_mov_b32_dpp v66, v249 row_shr:8 row_mask:0xf bank_mask:0xf// 000000008878: 7E8402FA FF0118F9
	v_mov_b32_dpp v67, v249 row_shl:8 row_mask:0xf bank_mask:0xf// 000000008880: 7E8602FA FF0108F9
	v_mov_b32_e32 v68, v248                                    // 000000008888: 7E8803F8
	v_mov_b32_e32 v69, v249                                    // 00000000888C: 7E8A03F9
	v_cndmask_b32_e64 v248, v68, v64, s[42:43]                 // 000000008890: D10000F8 00AA8144
	v_cndmask_b32_e64 v250, v68, v65, s[78:79]                 // 000000008898: D10000FA 013A8344
	v_cndmask_b32_e64 v249, v69, v66, s[42:43]                 // 0000000088A0: D10000F9 00AA8545
	v_cndmask_b32_e64 v251, v69, v67, s[78:79]                 // 0000000088A8: D10000FB 013A8745
	v_mov_b32_dpp v64, v58 row_shr:4 row_mask:0xf bank_mask:0xf// 0000000088B0: 7E8002FA FF01143A
	v_mov_b32_dpp v65, v58 row_shl:4 row_mask:0xf bank_mask:0xf// 0000000088B8: 7E8202FA FF01043A
	v_cndmask_b32_e64 v252, v58, v64, s[44:45]                 // 0000000088C0: D10000FC 00B2813A
	v_cndmask_b32_e64 v253, v65, v58, s[44:45]                 // 0000000088C8: D10000FD 00B27541
	v_mov_b32_dpp v64, v252 row_shr:8 row_mask:0xf bank_mask:0xf// 0000000088D0: 7E8002FA FF0118FC
	v_mov_b32_dpp v65, v252 row_shl:8 row_mask:0xf bank_mask:0xf// 0000000088D8: 7E8202FA FF0108FC
	v_mov_b32_dpp v66, v253 row_shr:8 row_mask:0xf bank_mask:0xf// 0000000088E0: 7E8402FA FF0118FD
	v_mov_b32_dpp v67, v253 row_shl:8 row_mask:0xf bank_mask:0xf// 0000000088E8: 7E8602FA FF0108FD
	v_mov_b32_e32 v68, v252                                    // 0000000088F0: 7E8803FC
	v_mov_b32_e32 v69, v253                                    // 0000000088F4: 7E8A03FD
	v_cndmask_b32_e64 v252, v68, v64, s[42:43]                 // 0000000088F8: D10000FC 00AA8144
	v_cndmask_b32_e64 v254, v68, v65, s[78:79]                 // 000000008900: D10000FE 013A8344
	v_cndmask_b32_e64 v253, v69, v66, s[42:43]                 // 000000008908: D10000FD 00AA8545
	v_cndmask_b32_e64 v255, v69, v67, s[78:79]                 // 000000008910: D10000FF 013A8745
	v_mul_f32_e32 v128, v19, v128                              // 000000008918: 0B010113
	v_mul_f32_e32 v129, v19, v129                              // 00000000891C: 0B030313
	v_mul_f32_e32 v130, v19, v130                              // 000000008920: 0B050513
	v_mul_f32_e32 v131, v19, v131                              // 000000008924: 0B070713
	v_mul_f32_e32 v132, v19, v132                              // 000000008928: 0B090913
	v_mul_f32_e32 v133, v19, v133                              // 00000000892C: 0B0B0B13
	v_mul_f32_e32 v134, v19, v134                              // 000000008930: 0B0D0D13
	v_mul_f32_e32 v135, v19, v135                              // 000000008934: 0B0F0F13
	v_mul_f32_e32 v136, v19, v136                              // 000000008938: 0B111113
	v_mul_f32_e32 v137, v19, v137                              // 00000000893C: 0B131313
	v_mul_f32_e32 v138, v19, v138                              // 000000008940: 0B151513
	v_mul_f32_e32 v139, v19, v139                              // 000000008944: 0B171713
	v_mul_f32_e32 v140, v19, v140                              // 000000008948: 0B191913
	v_mul_f32_e32 v141, v19, v141                              // 00000000894C: 0B1B1B13
	v_mul_f32_e32 v142, v19, v142                              // 000000008950: 0B1D1D13
	v_mul_f32_e32 v143, v19, v143                              // 000000008954: 0B1F1F13
	v_mul_f32_dpp v128, v248, v128 quad_perm:[0,0,0,0] row_mask:0xf bank_mask:0xf// 000000008958: 0B0100FA FF0000F8
	v_mul_f32_dpp v129, v248, v129 quad_perm:[1,1,1,1] row_mask:0xf bank_mask:0xf// 000000008960: 0B0302FA FF0055F8
	v_mul_f32_dpp v130, v248, v130 quad_perm:[2,2,2,2] row_mask:0xf bank_mask:0xf// 000000008968: 0B0504FA FF00AAF8
	v_mul_f32_dpp v131, v248, v131 quad_perm:[3,3,3,3] row_mask:0xf bank_mask:0xf// 000000008970: 0B0706FA FF00FFF8
	v_mul_f32_dpp v132, v249, v132 quad_perm:[0,0,0,0] row_mask:0xf bank_mask:0xf// 000000008978: 0B0908FA FF0000F9
	v_mul_f32_dpp v133, v249, v133 quad_perm:[1,1,1,1] row_mask:0xf bank_mask:0xf// 000000008980: 0B0B0AFA FF0055F9
	v_mul_f32_dpp v134, v249, v134 quad_perm:[2,2,2,2] row_mask:0xf bank_mask:0xf// 000000008988: 0B0D0CFA FF00AAF9
	v_mul_f32_dpp v135, v249, v135 quad_perm:[3,3,3,3] row_mask:0xf bank_mask:0xf// 000000008990: 0B0F0EFA FF00FFF9
	v_mul_f32_dpp v136, v250, v136 quad_perm:[0,0,0,0] row_mask:0xf bank_mask:0xf// 000000008998: 0B1110FA FF0000FA
	v_mul_f32_dpp v137, v250, v137 quad_perm:[1,1,1,1] row_mask:0xf bank_mask:0xf// 0000000089A0: 0B1312FA FF0055FA
	v_mul_f32_dpp v138, v250, v138 quad_perm:[2,2,2,2] row_mask:0xf bank_mask:0xf// 0000000089A8: 0B1514FA FF00AAFA
	v_mul_f32_dpp v139, v250, v139 quad_perm:[3,3,3,3] row_mask:0xf bank_mask:0xf// 0000000089B0: 0B1716FA FF00FFFA
	v_mul_f32_dpp v140, v251, v140 quad_perm:[0,0,0,0] row_mask:0xf bank_mask:0xf// 0000000089B8: 0B1918FA FF0000FB
	v_mul_f32_dpp v141, v251, v141 quad_perm:[1,1,1,1] row_mask:0xf bank_mask:0xf// 0000000089C0: 0B1B1AFA FF0055FB
	v_mul_f32_dpp v142, v251, v142 quad_perm:[2,2,2,2] row_mask:0xf bank_mask:0xf// 0000000089C8: 0B1D1CFA FF00AAFB
	v_mul_f32_dpp v143, v251, v143 quad_perm:[3,3,3,3] row_mask:0xf bank_mask:0xf// 0000000089D0: 0B1F1EFA FF00FFFB
	v_mov_b32_e32 v48, v128                                    // 0000000089D8: 7E600380
	v_max3_f32 v48, v128, v129, v48                            // 0000000089DC: D1D30030 04C30380
	v_max3_f32 v48, v130, v131, v48                            // 0000000089E4: D1D30030 04C30782
	v_max3_f32 v48, v132, v133, v48                            // 0000000089EC: D1D30030 04C30B84
	v_max3_f32 v48, v134, v135, v48                            // 0000000089F4: D1D30030 04C30F86
	v_max3_f32 v48, v136, v137, v48                            // 0000000089FC: D1D30030 04C31388
	v_max3_f32 v48, v138, v139, v48                            // 000000008A04: D1D30030 04C3178A
	v_max3_f32 v48, v140, v141, v48                            // 000000008A0C: D1D30030 04C31B8C
	v_max3_f32 v48, v142, v143, v48                            // 000000008A14: D1D30030 04C31F8E
	ds_write_b32 v8, v48 offset:16896                          // 000000008A1C: D81A4200 00003008
	v_mul_f32_e32 v216, v50, v216                              // 000000008A24: 0BB1B132
	v_mul_f32_e32 v217, v50, v217                              // 000000008A28: 0BB3B332
	v_mul_f32_e32 v218, v50, v218                              // 000000008A2C: 0BB5B532
	v_mul_f32_e32 v219, v50, v219                              // 000000008A30: 0BB7B732
	v_mul_f32_e32 v220, v50, v220                              // 000000008A34: 0BB9B932
	v_mul_f32_e32 v221, v50, v221                              // 000000008A38: 0BBBBB32
	v_mul_f32_e32 v222, v50, v222                              // 000000008A3C: 0BBDBD32
	v_mul_f32_e32 v223, v50, v223                              // 000000008A40: 0BBFBF32
	s_waitcnt lgkmcnt(0)                                       // 000000008A44: BF8CC07F
	s_barrier                                                  // 000000008A48: BF8A0000
	ds_read_b32 v64, v7 offset:16896                           // 000000008A4C: D86C4200 40000007
	ds_read_b32 v65, v7 offset:16960                           // 000000008A54: D86C4240 41000007
	ds_read_b32 v66, v7 offset:17024                           // 000000008A5C: D86C4280 42000007
	ds_read_b32 v67, v7 offset:17088                           // 000000008A64: D86C42C0 43000007
	ds_read_b32 v68, v7 offset:17152                           // 000000008A6C: D86C4300 44000007
	ds_read_b32 v69, v7 offset:17216                           // 000000008A74: D86C4340 45000007
	ds_read_b32 v70, v7 offset:17280                           // 000000008A7C: D86C4380 46000007
	ds_read_b32 v71, v7 offset:17344                           // 000000008A84: D86C43C0 47000007
	ds_read_b32 v72, v7 offset:17408                           // 000000008A8C: D86C4400 48000007
	ds_read_b32 v73, v7 offset:17472                           // 000000008A94: D86C4440 49000007
	ds_read_b32 v74, v7 offset:17536                           // 000000008A9C: D86C4480 4A000007
	ds_read_b32 v75, v7 offset:17600                           // 000000008AA4: D86C44C0 4B000007
	ds_read_b32 v76, v7 offset:17664                           // 000000008AAC: D86C4500 4C000007
	ds_read_b32 v77, v7 offset:17728                           // 000000008AB4: D86C4540 4D000007
	ds_read_b32 v78, v7 offset:17792                           // 000000008ABC: D86C4580 4E000007
	ds_read_b32 v79, v7 offset:17856                           // 000000008AC4: D86C45C0 4F000007
	v_mul_f32_e32 v184, v45, v184                              // 000000008ACC: 0B71712D
	v_mul_f32_e32 v185, v45, v185                              // 000000008AD0: 0B73732D
	v_mul_f32_e32 v186, v45, v186                              // 000000008AD4: 0B75752D
	v_mul_f32_e32 v187, v45, v187                              // 000000008AD8: 0B77772D
	v_mul_f32_e32 v188, v45, v188                              // 000000008ADC: 0B79792D
	v_mul_f32_e32 v189, v45, v189                              // 000000008AE0: 0B7B7B2D
	v_mul_f32_e32 v190, v45, v190                              // 000000008AE4: 0B7D7D2D
	v_mul_f32_e32 v191, v45, v191                              // 000000008AE8: 0B7F7F2D
	s_waitcnt lgkmcnt(0)                                       // 000000008AEC: BF8CC07F
	v_max3_f32 v48, v64, v65, v48                              // 000000008AF0: D1D30030 04C28340
	v_max3_f32 v48, v66, v67, v48                              // 000000008AF8: D1D30030 04C28742
	v_max3_f32 v48, v68, v69, v48                              // 000000008B00: D1D30030 04C28B44
	v_max3_f32 v48, v70, v71, v48                              // 000000008B08: D1D30030 04C28F46
	v_max3_f32 v48, v72, v73, v48                              // 000000008B10: D1D30030 04C29348
	v_max3_f32 v48, v74, v75, v48                              // 000000008B18: D1D30030 04C2974A
	v_max3_f32 v48, v76, v77, v48                              // 000000008B20: D1D30030 04C29B4C
	v_max3_f32 v48, v78, v79, v48                              // 000000008B28: D1D30030 04C29F4E
	v_mov_b32_e32 v64, 0xff800000                              // 000000008B30: 7E8002FF FF800000
	v_cmp_eq_u32_e64 s[40:41], v64, v12                        // 000000008B38: D0CA0028 00021940
	s_nop 1                                                    // 000000008B40: BF800001
	v_max_f32_e32 v15, v48, v12                                // 000000008B44: 161E1930
	v_mul_f32_e32 v53, s64, v15                                // 000000008B48: 0A6A1E40
	v_fma_f32 v128, v128, s64, -v53                            // 000000008B4C: D1CB0080 84D48180
	v_fma_f32 v129, v129, s64, -v53                            // 000000008B54: D1CB0081 84D48181
	v_fma_f32 v130, v130, s64, -v53                            // 000000008B5C: D1CB0082 84D48182
	v_fma_f32 v131, v131, s64, -v53                            // 000000008B64: D1CB0083 84D48183
	v_fma_f32 v132, v132, s64, -v53                            // 000000008B6C: D1CB0084 84D48184
	v_fma_f32 v133, v133, s64, -v53                            // 000000008B74: D1CB0085 84D48185
	v_fma_f32 v134, v134, s64, -v53                            // 000000008B7C: D1CB0086 84D48186
	v_fma_f32 v135, v135, s64, -v53                            // 000000008B84: D1CB0087 84D48187
	v_fma_f32 v136, v136, s64, -v53                            // 000000008B8C: D1CB0088 84D48188
	v_fma_f32 v137, v137, s64, -v53                            // 000000008B94: D1CB0089 84D48189
	v_fma_f32 v138, v138, s64, -v53                            // 000000008B9C: D1CB008A 84D4818A
	v_fma_f32 v139, v139, s64, -v53                            // 000000008BA4: D1CB008B 84D4818B
	v_fma_f32 v140, v140, s64, -v53                            // 000000008BAC: D1CB008C 84D4818C
	v_fma_f32 v141, v141, s64, -v53                            // 000000008BB4: D1CB008D 84D4818D
	v_fma_f32 v142, v142, s64, -v53                            // 000000008BBC: D1CB008E 84D4818E
	v_fma_f32 v143, v143, s64, -v53                            // 000000008BC4: D1CB008F 84D4818F
	v_exp_f32_e32 v128, v128                                   // 000000008BCC: 7F004180
	v_exp_f32_e32 v129, v129                                   // 000000008BD0: 7F024181
	v_exp_f32_e32 v130, v130                                   // 000000008BD4: 7F044182
	v_exp_f32_e32 v131, v131                                   // 000000008BD8: 7F064183
	v_exp_f32_e32 v132, v132                                   // 000000008BDC: 7F084184
	v_exp_f32_e32 v133, v133                                   // 000000008BE0: 7F0A4185
	v_exp_f32_e32 v134, v134                                   // 000000008BE4: 7F0C4186
	v_exp_f32_e32 v135, v135                                   // 000000008BE8: 7F0E4187
	v_exp_f32_e32 v136, v136                                   // 000000008BEC: 7F104188
	v_exp_f32_e32 v137, v137                                   // 000000008BF0: 7F124189
	v_exp_f32_e32 v138, v138                                   // 000000008BF4: 7F14418A
	v_exp_f32_e32 v139, v139                                   // 000000008BF8: 7F16418B
	v_exp_f32_e32 v140, v140                                   // 000000008BFC: 7F18418C
	v_exp_f32_e32 v141, v141                                   // 000000008C00: 7F1A418D
	v_exp_f32_e32 v142, v142                                   // 000000008C04: 7F1C418E
	v_exp_f32_e32 v143, v143                                   // 000000008C08: 7F1E418F
	v_mul_f32_dpp v240, v252, v128 quad_perm:[0,0,0,0] row_mask:0xf bank_mask:0xf// 000000008C0C: 0BE100FA FF0000FC
	v_mul_f32_dpp v241, v252, v129 quad_perm:[1,1,1,1] row_mask:0xf bank_mask:0xf// 000000008C14: 0BE302FA FF0055FC
	v_mul_f32_dpp v242, v252, v130 quad_perm:[2,2,2,2] row_mask:0xf bank_mask:0xf// 000000008C1C: 0BE504FA FF00AAFC
	v_mul_f32_dpp v243, v252, v131 quad_perm:[3,3,3,3] row_mask:0xf bank_mask:0xf// 000000008C24: 0BE706FA FF00FFFC
	v_mul_f32_dpp v244, v253, v132 quad_perm:[0,0,0,0] row_mask:0xf bank_mask:0xf// 000000008C2C: 0BE908FA FF0000FD
	v_mul_f32_dpp v245, v253, v133 quad_perm:[1,1,1,1] row_mask:0xf bank_mask:0xf// 000000008C34: 0BEB0AFA FF0055FD
	v_mul_f32_dpp v246, v253, v134 quad_perm:[2,2,2,2] row_mask:0xf bank_mask:0xf// 000000008C3C: 0BED0CFA FF00AAFD
	v_mul_f32_dpp v247, v253, v135 quad_perm:[3,3,3,3] row_mask:0xf bank_mask:0xf// 000000008C44: 0BEF0EFA FF00FFFD
	v_mul_f32_dpp v248, v254, v136 quad_perm:[0,0,0,0] row_mask:0xf bank_mask:0xf// 000000008C4C: 0BF110FA FF0000FE
	v_mul_f32_dpp v249, v254, v137 quad_perm:[1,1,1,1] row_mask:0xf bank_mask:0xf// 000000008C54: 0BF312FA FF0055FE
	v_mul_f32_dpp v250, v254, v138 quad_perm:[2,2,2,2] row_mask:0xf bank_mask:0xf// 000000008C5C: 0BF514FA FF00AAFE
	v_mul_f32_dpp v251, v254, v139 quad_perm:[3,3,3,3] row_mask:0xf bank_mask:0xf// 000000008C64: 0BF716FA FF00FFFE
	v_mul_f32_dpp v252, v255, v140 quad_perm:[0,0,0,0] row_mask:0xf bank_mask:0xf// 000000008C6C: 0BF918FA FF0000FF
	v_mul_f32_dpp v253, v255, v141 quad_perm:[1,1,1,1] row_mask:0xf bank_mask:0xf// 000000008C74: 0BFB1AFA FF0055FF
	v_mul_f32_dpp v254, v255, v142 quad_perm:[2,2,2,2] row_mask:0xf bank_mask:0xf// 000000008C7C: 0BFD1CFA FF00AAFF
	v_mul_f32_dpp v255, v255, v143 quad_perm:[3,3,3,3] row_mask:0xf bank_mask:0xf// 000000008C84: 0BFF1EFA FF00FFFF
	v_mov_b32_e32 v48, 0x358637bd                              // 000000008C8C: 7E6002FF 358637BD
	v_max3_f32 v48, |v240|, |v241|, v48                        // 000000008C94: D1D30330 04C3E3F0
	v_max3_f32 v48, |v242|, |v243|, v48                        // 000000008C9C: D1D30330 04C3E7F2
	v_max3_f32 v48, |v244|, |v245|, v48                        // 000000008CA4: D1D30330 04C3EBF4
	v_max3_f32 v48, |v246|, |v247|, v48                        // 000000008CAC: D1D30330 04C3EFF6
	v_max3_f32 v48, |v248|, |v249|, v48                        // 000000008CB4: D1D30330 04C3F3F8
	v_max3_f32 v48, |v250|, |v251|, v48                        // 000000008CBC: D1D30330 04C3F7FA
	v_max3_f32 v48, |v252|, |v253|, v48                        // 000000008CC4: D1D30330 04C3FBFC
	v_max3_f32 v48, |v254|, |v255|, v48                        // 000000008CCC: D1D30330 04C3FFFE
	ds_write_b32 v8, v48 offset:20992                          // 000000008CD4: D81A5200 00003008
	v_sub_f32_e32 v50, v12, v15                                // 000000008CDC: 04641F0C
	v_cndmask_b32_e64 v50, v50, 0, s[40:41]                    // 000000008CE0: D1000032 00A10132
	v_mov_b32_e32 v12, v15                                     // 000000008CE8: 7E18030F
	v_mul_f32_e32 v50, s64, v50                                // 000000008CEC: 0A646440
	v_exp_f32_e32 v50, v50                                     // 000000008CF0: 7E644132
	s_waitcnt lgkmcnt(0)                                       // 000000008CF4: BF8CC07F
	s_barrier                                                  // 000000008CF8: BF8A0000
	ds_read_b32 v64, v7 offset:20992                           // 000000008CFC: D86C5200 40000007
	ds_read_b32 v65, v7 offset:21056                           // 000000008D04: D86C5240 41000007
	ds_read_b32 v66, v7 offset:21120                           // 000000008D0C: D86C5280 42000007
	ds_read_b32 v67, v7 offset:21184                           // 000000008D14: D86C52C0 43000007
	ds_read_b32 v68, v7 offset:21248                           // 000000008D1C: D86C5300 44000007
	ds_read_b32 v69, v7 offset:21312                           // 000000008D24: D86C5340 45000007
	ds_read_b32 v70, v7 offset:21376                           // 000000008D2C: D86C5380 46000007
	ds_read_b32 v71, v7 offset:21440                           // 000000008D34: D86C53C0 47000007
	ds_read_b32 v72, v7 offset:21504                           // 000000008D3C: D86C5400 48000007
	ds_read_b32 v73, v7 offset:21568                           // 000000008D44: D86C5440 49000007
	ds_read_b32 v74, v7 offset:21632                           // 000000008D4C: D86C5480 4A000007
	ds_read_b32 v75, v7 offset:21696                           // 000000008D54: D86C54C0 4B000007
	ds_read_b32 v76, v7 offset:21760                           // 000000008D5C: D86C5500 4C000007
	ds_read_b32 v77, v7 offset:21824                           // 000000008D64: D86C5540 4D000007
	ds_read_b32 v78, v7 offset:21888                           // 000000008D6C: D86C5580 4E000007
	ds_read_b32 v79, v7 offset:21952                           // 000000008D74: D86C55C0 4F000007
	v_mul_f32_e32 v39, v50, v39                                // 000000008D7C: 0A4E4F32
	v_mov_b32_e32 v15, v128                                    // 000000008D80: 7E1E0380
	v_add_f32_e32 v15, v129, v15                               // 000000008D84: 021E1F81
	v_add_f32_e32 v15, v130, v15                               // 000000008D88: 021E1F82
	v_add_f32_e32 v15, v131, v15                               // 000000008D8C: 021E1F83
	v_add_f32_e32 v15, v132, v15                               // 000000008D90: 021E1F84
	v_add_f32_e32 v15, v133, v15                               // 000000008D94: 021E1F85
	v_add_f32_e32 v15, v134, v15                               // 000000008D98: 021E1F86
	v_add_f32_e32 v15, v135, v15                               // 000000008D9C: 021E1F87
	v_add_f32_e32 v15, v136, v15                               // 000000008DA0: 021E1F88
	v_add_f32_e32 v15, v137, v15                               // 000000008DA4: 021E1F89
	v_add_f32_e32 v15, v138, v15                               // 000000008DA8: 021E1F8A
	v_add_f32_e32 v15, v139, v15                               // 000000008DAC: 021E1F8B
	v_add_f32_e32 v15, v140, v15                               // 000000008DB0: 021E1F8C
	v_add_f32_e32 v15, v141, v15                               // 000000008DB4: 021E1F8D
	v_add_f32_e32 v15, v142, v15                               // 000000008DB8: 021E1F8E
	v_add_f32_e32 v15, v143, v15                               // 000000008DBC: 021E1F8F
	v_add_f32_e32 v39, v15, v39                                // 000000008DC0: 024E4F0F
	s_waitcnt lgkmcnt(0)                                       // 000000008DC4: BF8CC07F
	v_max3_f32 v48, |v64|, |v65|, v48                          // 000000008DC8: D1D30330 04C28340
	v_max3_f32 v48, |v66|, |v67|, v48                          // 000000008DD0: D1D30330 04C28742
	v_max3_f32 v48, |v68|, |v69|, v48                          // 000000008DD8: D1D30330 04C28B44
	v_max3_f32 v48, |v70|, |v71|, v48                          // 000000008DE0: D1D30330 04C28F46
	v_max3_f32 v48, |v72|, |v73|, v48                          // 000000008DE8: D1D30330 04C29348
	v_max3_f32 v48, |v74|, |v75|, v48                          // 000000008DF0: D1D30330 04C2974A
	v_max3_f32 v48, |v76|, |v77|, v48                          // 000000008DF8: D1D30330 04C29B4C
	v_max3_f32 v48, |v78|, |v79|, v48                          // 000000008E00: D1D30330 04C29F4E
	s_nop 2                                                    // 000000008E08: BF800002
	v_rcp_f32_e32 v48, v48                                     // 000000008E0C: 7E604530
	s_nop 1                                                    // 000000008E10: BF800001
	v_mul_f32_e32 v48, 0x43e00000, v48                         // 000000008E14: 0A6060FF 43E00000
	v_mul_f32_e32 v128, v48, v240                              // 000000008E1C: 0B01E130
	v_mul_f32_e32 v129, v48, v241                              // 000000008E20: 0B03E330
	v_mul_f32_e32 v130, v48, v242                              // 000000008E24: 0B05E530
	v_mul_f32_e32 v131, v48, v243                              // 000000008E28: 0B07E730
	v_mul_f32_e32 v132, v48, v244                              // 000000008E2C: 0B09E930
	v_mul_f32_e32 v133, v48, v245                              // 000000008E30: 0B0BEB30
	v_mul_f32_e32 v134, v48, v246                              // 000000008E34: 0B0DED30
	v_mul_f32_e32 v135, v48, v247                              // 000000008E38: 0B0FEF30
	v_mul_f32_e32 v136, v48, v248                              // 000000008E3C: 0B11F130
	v_mul_f32_e32 v137, v48, v249                              // 000000008E40: 0B13F330
	v_mul_f32_e32 v138, v48, v250                              // 000000008E44: 0B15F530
	v_mul_f32_e32 v139, v48, v251                              // 000000008E48: 0B17F730
	v_mul_f32_e32 v140, v48, v252                              // 000000008E4C: 0B19F930
	v_mul_f32_e32 v141, v48, v253                              // 000000008E50: 0B1BFB30
	v_mul_f32_e32 v142, v48, v254                              // 000000008E54: 0B1DFD30
	v_mul_f32_e32 v143, v48, v255                              // 000000008E58: 0B1FFF30
	v_cvt_pk_fp8_f32 v128, v128, v129                          // 000000008E5C: D2A20080 00030380
	v_cvt_pk_fp8_f32 v128, v130, v131 op_sel:[0,0,1]           // 000000008E64: D2A24080 00030782
	v_cvt_pk_fp8_f32 v129, v132, v133                          // 000000008E6C: D2A20081 00030B84
	v_cvt_pk_fp8_f32 v129, v134, v135 op_sel:[0,0,1]           // 000000008E74: D2A24081 00030F86
	v_cvt_pk_fp8_f32 v130, v136, v137                          // 000000008E7C: D2A20082 00031388
	v_cvt_pk_fp8_f32 v130, v138, v139 op_sel:[0,0,1]           // 000000008E84: D2A24082 0003178A
	v_cvt_pk_fp8_f32 v131, v140, v141                          // 000000008E8C: D2A20083 00031B8C
	v_cvt_pk_fp8_f32 v131, v142, v143 op_sel:[0,0,1]           // 000000008E94: D2A24083 00031F8E
	ds_write_b32 v10, v128 offset:29184                        // 000000008E9C: D81A7200 0000800A
	ds_write_b32 v10, v129 offset:30208                        // 000000008EA4: D81A7600 0000810A
	ds_write_b32 v10, v130 offset:31232                        // 000000008EAC: D81A7A00 0000820A
	ds_write_b32 v10, v131 offset:32256                        // 000000008EB4: D81A7E00 0000830A
	v_add_f32_e32 v216, v216, v184                             // 000000008EBC: 03B171D8
	v_add_f32_e32 v217, v217, v185                             // 000000008EC0: 03B373D9
	v_add_f32_e32 v218, v218, v186                             // 000000008EC4: 03B575DA
	v_add_f32_e32 v219, v219, v187                             // 000000008EC8: 03B777DB
	v_add_f32_e32 v220, v220, v188                             // 000000008ECC: 03B979DC
	v_add_f32_e32 v221, v221, v189                             // 000000008ED0: 03BB7BDD
	v_add_f32_e32 v222, v222, v190                             // 000000008ED4: 03BD7DDE
	v_add_f32_e32 v223, v223, v191                             // 000000008ED8: 03BF7FDF
	v_rcp_f32_e32 v45, v48                                     // 000000008EDC: 7E5A4530
	s_waitcnt lgkmcnt(0)                                       // 000000008EE0: BF8CC07F
	s_barrier                                                  // 000000008EE4: BF8A0000
	ds_read_b64 v[128:129], v9 offset:29184                    // 000000008EE8: D8EC7200 80000009
	ds_read_b64 v[130:131], v9 offset:29312                    // 000000008EF0: D8EC7280 82000009
	ds_read_b64 v[132:133], v9 offset:30208                    // 000000008EF8: D8EC7600 84000009
	ds_read_b64 v[134:135], v9 offset:30336                    // 000000008F00: D8EC7680 86000009
	ds_read_b64 v[136:137], v9 offset:31232                    // 000000008F08: D8EC7A00 88000009
	ds_read_b64 v[138:139], v9 offset:31360                    // 000000008F10: D8EC7A80 8A000009
	ds_read_b64 v[140:141], v9 offset:32256                    // 000000008F18: D8EC7E00 8C000009
	ds_read_b64 v[142:143], v9 offset:32384                    // 000000008F20: D8EC7E80 8E000009
	s_waitcnt vmcnt(15)                                        // 000000008F28: BF8C0F7F
	v_mfma_f32_16x16x32_fp8_fp8 v[176:179], a[96:97], v[112:113], 0// 000000008F2C: D3F300B0 0A02E160
	v_mfma_f32_16x16x32_fp8_fp8 v[176:179], a[98:99], v[114:115], v[176:179]// 000000008F34: D3F300B0 0EC2E562
	buffer_load_dwordx4 a[80:83], v30, s[20:23], 0 offen offset:1024// 000000008F3C: E05C1400 8085501E
	v_mfma_f32_16x16x32_fp8_fp8 v[176:179], a[100:101], v[116:117], v[176:179]// 000000008F44: D3F300B0 0EC2E964
	v_mfma_f32_16x16x32_fp8_fp8 v[176:179], a[102:103], v[118:119], v[176:179]// 000000008F4C: D3F300B0 0EC2ED66
	v_mfma_f32_16x16x32_fp8_fp8 v[176:179], a[104:105], v[120:121], v[176:179]// 000000008F54: D3F300B0 0EC2F168
	v_mfma_f32_16x16x32_fp8_fp8 v[176:179], a[106:107], v[122:123], v[176:179]// 000000008F5C: D3F300B0 0EC2F56A
	buffer_load_dwordx4 a[84:87], v31, s[20:23], 0 offen offset:1024// 000000008F64: E05C1400 8085541F
	v_mfma_f32_16x16x32_fp8_fp8 v[176:179], a[108:109], v[124:125], v[176:179]// 000000008F6C: D3F300B0 0EC2F96C
	v_mfma_f32_16x16x32_fp8_fp8 v[176:179], a[110:111], v[126:127], v[176:179]// 000000008F74: D3F300B0 0EC2FD6E
	v_mfma_f32_16x16x32_fp8_fp8 v[180:183], a[112:113], v[112:113], 0// 000000008F7C: D3F300B4 0A02E170
	v_mfma_f32_16x16x32_fp8_fp8 v[180:183], a[114:115], v[114:115], v[180:183]// 000000008F84: D3F300B4 0ED2E572
	buffer_load_dwordx4 a[88:91], v32, s[20:23], 0 offen offset:1024// 000000008F8C: E05C1400 80855820
	v_mfma_f32_16x16x32_fp8_fp8 v[180:183], a[116:117], v[116:117], v[180:183]// 000000008F94: D3F300B4 0ED2E974
	v_mfma_f32_16x16x32_fp8_fp8 v[180:183], a[118:119], v[118:119], v[180:183]// 000000008F9C: D3F300B4 0ED2ED76
	v_mfma_f32_16x16x32_fp8_fp8 v[180:183], a[120:121], v[120:121], v[180:183]// 000000008FA4: D3F300B4 0ED2F178
	v_mfma_f32_16x16x32_fp8_fp8 v[180:183], a[122:123], v[122:123], v[180:183]// 000000008FAC: D3F300B4 0ED2F57A
	buffer_load_dwordx4 a[92:95], v33, s[20:23], 0 offen offset:1024// 000000008FB4: E05C1400 80855C21
	v_mfma_f32_16x16x32_fp8_fp8 v[180:183], a[124:125], v[124:125], v[180:183]// 000000008FBC: D3F300B4 0ED2F97C
	s_lshr_b32 s57, s70, 4                                     // 000000008FC4: 8F398446
	s_add_u32 s57, 48, s57                                     // 000000008FC8: 803939B0
	v_mfma_f32_16x16x32_fp8_fp8 v[180:183], a[126:127], v[126:127], v[180:183]// 000000008FCC: D3F300B4 0ED2FD7E
	s_cmp_ge_u32 s57, s73                                      // 000000008FD4: BF094939
	s_cselect_b32 s56, 0, s56                                  // 000000008FD8: 85383880
	v_mfma_f32_16x16x32_fp8_fp8 v[184:187], a[96:97], v[128:129], 0// 000000008FDC: D3F300B8 0A030160
	v_mfma_f32_16x16x32_fp8_fp8 v[184:187], a[98:99], v[130:131], v[184:187]// 000000008FE4: D3F300B8 0EE30562
	v_mfma_f32_16x16x32_fp8_fp8 v[184:187], a[100:101], v[132:133], v[184:187]// 000000008FEC: D3F300B8 0EE30964
	v_mfma_f32_16x16x32_fp8_fp8 v[184:187], a[102:103], v[134:135], v[184:187]// 000000008FF4: D3F300B8 0EE30D66
	v_mfma_f32_16x16x32_fp8_fp8 v[184:187], a[104:105], v[136:137], v[184:187]// 000000008FFC: D3F300B8 0EE31168
	v_mfma_f32_16x16x32_fp8_fp8 v[184:187], a[106:107], v[138:139], v[184:187]// 000000009004: D3F300B8 0EE3156A
	v_mfma_f32_16x16x32_fp8_fp8 v[184:187], a[108:109], v[140:141], v[184:187]// 00000000900C: D3F300B8 0EE3196C
	v_mfma_f32_16x16x32_fp8_fp8 v[184:187], a[110:111], v[142:143], v[184:187]// 000000009014: D3F300B8 0EE31D6E
	v_mfma_f32_16x16x32_fp8_fp8 v[188:191], a[112:113], v[128:129], 0// 00000000901C: D3F300BC 0A030170
	v_mfma_f32_16x16x32_fp8_fp8 v[188:191], a[114:115], v[130:131], v[188:191]// 000000009024: D3F300BC 0EF30572
	v_mfma_f32_16x16x32_fp8_fp8 v[188:191], a[116:117], v[132:133], v[188:191]// 00000000902C: D3F300BC 0EF30974
	v_mfma_f32_16x16x32_fp8_fp8 v[188:191], a[118:119], v[134:135], v[188:191]// 000000009034: D3F300BC 0EF30D76
	v_mfma_f32_16x16x32_fp8_fp8 v[188:191], a[120:121], v[136:137], v[188:191]// 00000000903C: D3F300BC 0EF31178
	v_mfma_f32_16x16x32_fp8_fp8 v[188:191], a[122:123], v[138:139], v[188:191]// 000000009044: D3F300BC 0EF3157A
	v_mfma_f32_16x16x32_fp8_fp8 v[188:191], a[124:125], v[140:141], v[188:191]// 00000000904C: D3F300BC 0EF3197C
	v_mfma_f32_16x16x32_fp8_fp8 v[188:191], a[126:127], v[142:143], v[188:191]// 000000009054: D3F300BC 0EF31D7E
	v_add_u32_e32 v1, s56, v1                                  // 00000000905C: 68020238
	s_addk_i32 s70, 0x100                                      // 000000009060: B7460100
	s_cmp_lt_i32 s70, s71                                      // 000000009064: BF044746
	s_cbranch_scc0 label_1B9C                                  // 000000009068: BF840001
	s_branch label_131F                                        // 00000000906C: BF82F783

0000000000009070 <label_1B9C>:
	s_nop 0                                                    // 000000009070: BF800000
	s_nop 0                                                    // 000000009074: BF800000
	s_branch label_241C                                        // 000000009078: BF82087D

000000000000907c <label_1B9F>:
	s_waitcnt vmcnt(8) lgkmcnt(0)                              // 00000000907C: BF8C0078
	v_mul_u32_u24_dpp v64, v17, v54 row_newbcast:0 row_mask:0xf bank_mask:0xf// 000000009080: 10806CFA FF015011
	v_mul_u32_u24_dpp v65, v17, v54 row_newbcast:4 row_mask:0xf bank_mask:0xf// 000000009088: 10826CFA FF015411
	v_mul_u32_u24_dpp v66, v17, v54 row_newbcast:8 row_mask:0xf bank_mask:0xf// 000000009090: 10846CFA FF015811
	v_mul_u32_u24_dpp v67, v17, v54 row_newbcast:12 row_mask:0xf bank_mask:0xf// 000000009098: 10866CFA FF015C11
	v_add_u32_e32 v26, v64, v5                                 // 0000000090A0: 68340B40
	v_add_u32_e32 v27, v65, v5                                 // 0000000090A4: 68360B41
	v_add_u32_e32 v28, v66, v5                                 // 0000000090A8: 68380B42
	v_add_u32_e32 v29, v67, v5                                 // 0000000090AC: 683A0B43
	v_mul_u32_u24_dpp v64, v17, v63 quad_perm:[0,0,0,0] row_mask:0xf bank_mask:0xf// 0000000090B0: 10807EFA FF000011
	v_add_u32_e32 v3, v64, v59                                 // 0000000090B8: 68067740
	v_mul_u32_u24_dpp v64, v17, v63 quad_perm:[0,0,0,0] row_mask:0xf bank_mask:0xf// 0000000090BC: 10807EFA FF000011
	v_add_u32_e32 v56, v64, v60                                // 0000000090C4: 68707940
	v_mfma_f32_16x16x32_fp8_fp8 v[112:115], a[0:1], v[80:81], 0// 0000000090C8: D3F30070 0A02A100
	buffer_load_dwordx4 a[32:35], v26, s[16:19], 0 offen       // 0000000090D0: E05C1000 8084201A
	v_mfma_f32_16x16x32_fp8_fp8 v[112:115], a[2:3], v[82:83], v[112:115]// 0000000090D8: D3F30070 0DC2A502
	v_mfma_f32_16x16x32_fp8_fp8 v[112:115], a[4:5], v[84:85], v[112:115]// 0000000090E0: D3F30070 0DC2A904
	buffer_load_dword v16, v1, s[24:27], 0 offen               // 0000000090E8: E0501000 80061001
	v_mfma_f32_16x16x32_fp8_fp8 v[112:115], a[6:7], v[86:87], v[112:115]// 0000000090F0: D3F30070 0DC2AD06
	v_mfma_f32_16x16x32_fp8_fp8 v[116:119], a[8:9], v[80:81], 0// 0000000090F8: D3F30074 0A02A108
	buffer_load_dwordx4 a[36:39], v26, s[16:19], 0 offen offset:1024// 000000009100: E05C1400 8084241A
	v_mfma_f32_16x16x32_fp8_fp8 v[116:119], a[10:11], v[82:83], v[116:119]// 000000009108: D3F30074 0DD2A50A
	v_mfma_f32_16x16x32_fp8_fp8 v[116:119], a[12:13], v[84:85], v[116:119]// 000000009110: D3F30074 0DD2A90C
	v_mfma_f32_16x16x32_fp8_fp8 v[116:119], a[14:15], v[86:87], v[116:119]// 000000009118: D3F30074 0DD2AD0E
	v_mfma_f32_16x16x32_fp8_fp8 v[120:123], a[16:17], v[80:81], 0// 000000009120: D3F30078 0A02A110
	buffer_load_dwordx4 a[40:43], v27, s[16:19], 0 offen       // 000000009128: E05C1000 8084281B
	v_mfma_f32_16x16x32_fp8_fp8 v[120:123], a[18:19], v[82:83], v[120:123]// 000000009130: D3F30078 0DE2A512
	v_mfma_f32_16x16x32_fp8_fp8 v[120:123], a[20:21], v[84:85], v[120:123]// 000000009138: D3F30078 0DE2A914
	v_mfma_f32_16x16x32_fp8_fp8 v[120:123], a[22:23], v[86:87], v[120:123]// 000000009140: D3F30078 0DE2AD16
	v_mfma_f32_16x16x32_fp8_fp8 v[124:127], a[24:25], v[80:81], 0// 000000009148: D3F3007C 0A02A118
	buffer_load_dwordx4 a[44:47], v27, s[16:19], 0 offen offset:1024// 000000009150: E05C1400 80842C1B
	v_mfma_f32_16x16x32_fp8_fp8 v[124:127], a[26:27], v[82:83], v[124:127]// 000000009158: D3F3007C 0DF2A51A
	v_mfma_f32_16x16x32_fp8_fp8 v[124:127], a[28:29], v[84:85], v[124:127]// 000000009160: D3F3007C 0DF2A91C
	v_mfma_f32_16x16x32_fp8_fp8 v[124:127], a[30:31], v[86:87], v[124:127]// 000000009168: D3F3007C 0DF2AD1E
	v_mfma_f32_16x16x32_fp8_fp8 v[128:131], a[0:1], v[88:89], 0// 000000009170: D3F30080 0A02B100
	v_mfma_f32_16x16x32_fp8_fp8 v[128:131], a[2:3], v[90:91], v[128:131]// 000000009178: D3F30080 0E02B502
	v_mfma_f32_16x16x32_fp8_fp8 v[128:131], a[4:5], v[92:93], v[128:131]// 000000009180: D3F30080 0E02B904
	v_mfma_f32_16x16x32_fp8_fp8 v[128:131], a[6:7], v[94:95], v[128:131]// 000000009188: D3F30080 0E02BD06
	v_mfma_f32_16x16x32_fp8_fp8 v[132:135], a[8:9], v[88:89], 0// 000000009190: D3F30084 0A02B108
	v_mfma_f32_16x16x32_fp8_fp8 v[132:135], a[10:11], v[90:91], v[132:135]// 000000009198: D3F30084 0E12B50A
	v_mfma_f32_16x16x32_fp8_fp8 v[132:135], a[12:13], v[92:93], v[132:135]// 0000000091A0: D3F30084 0E12B90C
	v_mfma_f32_16x16x32_fp8_fp8 v[132:135], a[14:15], v[94:95], v[132:135]// 0000000091A8: D3F30084 0E12BD0E
	v_mfma_f32_16x16x32_fp8_fp8 v[136:139], a[16:17], v[88:89], 0// 0000000091B0: D3F30088 0A02B110
	v_mfma_f32_16x16x32_fp8_fp8 v[136:139], a[18:19], v[90:91], v[136:139]// 0000000091B8: D3F30088 0E22B512
	v_mfma_f32_16x16x32_fp8_fp8 v[136:139], a[20:21], v[92:93], v[136:139]// 0000000091C0: D3F30088 0E22B914
	v_mfma_f32_16x16x32_fp8_fp8 v[136:139], a[22:23], v[94:95], v[136:139]// 0000000091C8: D3F30088 0E22BD16
	v_mfma_f32_16x16x32_fp8_fp8 v[140:143], a[24:25], v[88:89], 0// 0000000091D0: D3F3008C 0A02B118
	v_mfma_f32_16x16x32_fp8_fp8 v[140:143], a[26:27], v[90:91], v[140:143]// 0000000091D8: D3F3008C 0E32B51A
	v_mfma_f32_16x16x32_fp8_fp8 v[140:143], a[28:29], v[92:93], v[140:143]// 0000000091E0: D3F3008C 0E32B91C
	v_mfma_f32_16x16x32_fp8_fp8 v[140:143], a[30:31], v[94:95], v[140:143]// 0000000091E8: D3F3008C 0E32BD1E
	buffer_load_dword v43, v3, s[32:35], 0 offen               // 0000000091F0: E0501000 80082B03
	v_mov_b32_dpp v64, v42 row_shr:4 row_mask:0xf bank_mask:0xf// 0000000091F8: 7E8002FA FF01142A
	v_mov_b32_dpp v65, v42 row_shl:4 row_mask:0xf bank_mask:0xf// 000000009200: 7E8202FA FF01042A
	v_cndmask_b32_e64 v248, v42, v64, s[44:45]                 // 000000009208: D10000F8 00B2812A
	v_cndmask_b32_e64 v249, v65, v42, s[44:45]                 // 000000009210: D10000F9 00B25541
	v_mov_b32_dpp v64, v248 row_shr:8 row_mask:0xf bank_mask:0xf// 000000009218: 7E8002FA FF0118F8
	v_mov_b32_dpp v65, v248 row_shl:8 row_mask:0xf bank_mask:0xf// 000000009220: 7E8202FA FF0108F8
	v_mov_b32_dpp v66, v249 row_shr:8 row_mask:0xf bank_mask:0xf// 000000009228: 7E8402FA FF0118F9
	v_mov_b32_dpp v67, v249 row_shl:8 row_mask:0xf bank_mask:0xf// 000000009230: 7E8602FA FF0108F9
	v_mov_b32_e32 v68, v248                                    // 000000009238: 7E8803F8
	v_mov_b32_e32 v69, v249                                    // 00000000923C: 7E8A03F9
	v_cndmask_b32_e64 v248, v68, v64, s[42:43]                 // 000000009240: D10000F8 00AA8144
	v_cndmask_b32_e64 v250, v68, v65, s[78:79]                 // 000000009248: D10000FA 013A8344
	v_cndmask_b32_e64 v249, v69, v66, s[42:43]                 // 000000009250: D10000F9 00AA8545
	v_cndmask_b32_e64 v251, v69, v67, s[78:79]                 // 000000009258: D10000FB 013A8745
	v_mov_b32_dpp v64, v57 row_shr:4 row_mask:0xf bank_mask:0xf// 000000009260: 7E8002FA FF011439
	v_mov_b32_dpp v65, v57 row_shl:4 row_mask:0xf bank_mask:0xf// 000000009268: 7E8202FA FF010439
	v_cndmask_b32_e64 v252, v57, v64, s[44:45]                 // 000000009270: D10000FC 00B28139
	v_cndmask_b32_e64 v253, v65, v57, s[44:45]                 // 000000009278: D10000FD 00B27341
	v_mov_b32_dpp v64, v252 row_shr:8 row_mask:0xf bank_mask:0xf// 000000009280: 7E8002FA FF0118FC
	v_mov_b32_dpp v65, v252 row_shl:8 row_mask:0xf bank_mask:0xf// 000000009288: 7E8202FA FF0108FC
	v_mov_b32_dpp v66, v253 row_shr:8 row_mask:0xf bank_mask:0xf// 000000009290: 7E8402FA FF0118FD
	v_mov_b32_dpp v67, v253 row_shl:8 row_mask:0xf bank_mask:0xf// 000000009298: 7E8602FA FF0108FD
	v_mov_b32_e32 v68, v252                                    // 0000000092A0: 7E8803FC
	v_mov_b32_e32 v69, v253                                    // 0000000092A4: 7E8A03FD
	v_cndmask_b32_e64 v252, v68, v64, s[42:43]                 // 0000000092A8: D10000FC 00AA8144
	v_cndmask_b32_e64 v254, v68, v65, s[78:79]                 // 0000000092B0: D10000FE 013A8344
	v_cndmask_b32_e64 v253, v69, v66, s[42:43]                 // 0000000092B8: D10000FD 00AA8545
	v_cndmask_b32_e64 v255, v69, v67, s[78:79]                 // 0000000092C0: D10000FF 013A8745
	buffer_load_dword v58, v56, s[36:39], 0 offen              // 0000000092C8: E0501000 80093A38
	v_mul_f32_e32 v112, v18, v112                              // 0000000092D0: 0AE0E112
	v_mul_f32_e32 v113, v18, v113                              // 0000000092D4: 0AE2E312
	v_mul_f32_e32 v114, v18, v114                              // 0000000092D8: 0AE4E512
	v_mul_f32_e32 v115, v18, v115                              // 0000000092DC: 0AE6E712
	v_mul_f32_e32 v116, v18, v116                              // 0000000092E0: 0AE8E912
	v_mul_f32_e32 v117, v18, v117                              // 0000000092E4: 0AEAEB12
	v_mul_f32_e32 v118, v18, v118                              // 0000000092E8: 0AECED12
	v_mul_f32_e32 v119, v18, v119                              // 0000000092EC: 0AEEEF12
	v_mul_f32_e32 v120, v18, v120                              // 0000000092F0: 0AF0F112
	v_mul_f32_e32 v121, v18, v121                              // 0000000092F4: 0AF2F312
	v_mul_f32_e32 v122, v18, v122                              // 0000000092F8: 0AF4F512
	v_mul_f32_e32 v123, v18, v123                              // 0000000092FC: 0AF6F712
	v_mul_f32_e32 v124, v18, v124                              // 000000009300: 0AF8F912
	v_mul_f32_e32 v125, v18, v125                              // 000000009304: 0AFAFB12
	v_mul_f32_e32 v126, v18, v126                              // 000000009308: 0AFCFD12
	v_mul_f32_e32 v127, v18, v127                              // 00000000930C: 0AFEFF12
	buffer_load_dwordx4 a[48:51], v28, s[16:19], 0 offen       // 000000009310: E05C1000 8084301C
	v_mul_f32_dpp v112, v248, v112 quad_perm:[0,0,0,0] row_mask:0xf bank_mask:0xf// 000000009318: 0AE0E0FA FF0000F8
	v_mul_f32_dpp v113, v248, v113 quad_perm:[1,1,1,1] row_mask:0xf bank_mask:0xf// 000000009320: 0AE2E2FA FF0055F8
	v_mul_f32_dpp v114, v248, v114 quad_perm:[2,2,2,2] row_mask:0xf bank_mask:0xf// 000000009328: 0AE4E4FA FF00AAF8
	v_mul_f32_dpp v115, v248, v115 quad_perm:[3,3,3,3] row_mask:0xf bank_mask:0xf// 000000009330: 0AE6E6FA FF00FFF8
	v_mul_f32_dpp v116, v249, v116 quad_perm:[0,0,0,0] row_mask:0xf bank_mask:0xf// 000000009338: 0AE8E8FA FF0000F9
	v_mul_f32_dpp v117, v249, v117 quad_perm:[1,1,1,1] row_mask:0xf bank_mask:0xf// 000000009340: 0AEAEAFA FF0055F9
	v_mul_f32_dpp v118, v249, v118 quad_perm:[2,2,2,2] row_mask:0xf bank_mask:0xf// 000000009348: 0AECECFA FF00AAF9
	v_mul_f32_dpp v119, v249, v119 quad_perm:[3,3,3,3] row_mask:0xf bank_mask:0xf// 000000009350: 0AEEEEFA FF00FFF9
	v_mul_f32_dpp v120, v250, v120 quad_perm:[0,0,0,0] row_mask:0xf bank_mask:0xf// 000000009358: 0AF0F0FA FF0000FA
	v_mul_f32_dpp v121, v250, v121 quad_perm:[1,1,1,1] row_mask:0xf bank_mask:0xf// 000000009360: 0AF2F2FA FF0055FA
	v_mul_f32_dpp v122, v250, v122 quad_perm:[2,2,2,2] row_mask:0xf bank_mask:0xf// 000000009368: 0AF4F4FA FF00AAFA
	v_mul_f32_dpp v123, v250, v123 quad_perm:[3,3,3,3] row_mask:0xf bank_mask:0xf// 000000009370: 0AF6F6FA FF00FFFA
	v_mul_f32_dpp v124, v251, v124 quad_perm:[0,0,0,0] row_mask:0xf bank_mask:0xf// 000000009378: 0AF8F8FA FF0000FB
	v_mul_f32_dpp v125, v251, v125 quad_perm:[1,1,1,1] row_mask:0xf bank_mask:0xf// 000000009380: 0AFAFAFA FF0055FB
	v_mul_f32_dpp v126, v251, v126 quad_perm:[2,2,2,2] row_mask:0xf bank_mask:0xf// 000000009388: 0AFCFCFA FF00AAFB
	v_mul_f32_dpp v127, v251, v127 quad_perm:[3,3,3,3] row_mask:0xf bank_mask:0xf// 000000009390: 0AFEFEFA FF00FFFB
	buffer_load_dwordx4 a[52:55], v28, s[16:19], 0 offen offset:1024// 000000009398: E05C1400 8084341C
	v_mov_b32_e32 v48, v112                                    // 0000000093A0: 7E600370
	v_max3_f32 v48, v112, v113, v48                            // 0000000093A4: D1D30030 04C2E370
	v_max3_f32 v48, v114, v115, v48                            // 0000000093AC: D1D30030 04C2E772
	v_max3_f32 v48, v116, v117, v48                            // 0000000093B4: D1D30030 04C2EB74
	v_max3_f32 v48, v118, v119, v48                            // 0000000093BC: D1D30030 04C2EF76
	v_max3_f32 v48, v120, v121, v48                            // 0000000093C4: D1D30030 04C2F378
	v_max3_f32 v48, v122, v123, v48                            // 0000000093CC: D1D30030 04C2F77A
	v_max3_f32 v48, v124, v125, v48                            // 0000000093D4: D1D30030 04C2FB7C
	v_max3_f32 v48, v126, v127, v48                            // 0000000093DC: D1D30030 04C2FF7E
	ds_write_b32 v8, v48 offset:16896                          // 0000000093E4: D81A4200 00003008
	buffer_load_dwordx4 a[56:59], v29, s[16:19], 0 offen       // 0000000093EC: E05C1000 8084381D
	v_mul_u32_u24_dpp v64, v17, v54 row_newbcast:1 row_mask:0xf bank_mask:0xf// 0000000093F4: 10806CFA FF015111
	v_mul_u32_u24_dpp v65, v17, v54 row_newbcast:5 row_mask:0xf bank_mask:0xf// 0000000093FC: 10826CFA FF015511
	v_mul_u32_u24_dpp v66, v17, v54 row_newbcast:9 row_mask:0xf bank_mask:0xf// 000000009404: 10846CFA FF015911
	v_mul_u32_u24_dpp v67, v17, v54 row_newbcast:13 row_mask:0xf bank_mask:0xf// 00000000940C: 10866CFA FF015D11
	v_add_u32_e32 v34, v64, v6                                 // 000000009414: 68440D40
	v_add_u32_e32 v35, v65, v6                                 // 000000009418: 68460D41
	v_add_u32_e32 v36, v66, v6                                 // 00000000941C: 68480D42
	v_add_u32_e32 v37, v67, v6                                 // 000000009420: 684A0D43
	v_mul_f32_e32 v208, v49, v208                              // 000000009424: 0BA1A131
	v_mul_f32_e32 v209, v49, v209                              // 000000009428: 0BA3A331
	v_mul_f32_e32 v210, v49, v210                              // 00000000942C: 0BA5A531
	v_mul_f32_e32 v211, v49, v211                              // 000000009430: 0BA7A731
	v_mul_f32_e32 v212, v49, v212                              // 000000009434: 0BA9A931
	v_mul_f32_e32 v213, v49, v213                              // 000000009438: 0BABAB31
	v_mul_f32_e32 v214, v49, v214                              // 00000000943C: 0BADAD31
	v_mul_f32_e32 v215, v49, v215                              // 000000009440: 0BAFAF31
	s_waitcnt lgkmcnt(0)                                       // 000000009444: BF8CC07F
	s_barrier                                                  // 000000009448: BF8A0000
	ds_read_b32 v64, v7 offset:16896                           // 00000000944C: D86C4200 40000007
	ds_read_b32 v65, v7 offset:16960                           // 000000009454: D86C4240 41000007
	ds_read_b32 v66, v7 offset:17024                           // 00000000945C: D86C4280 42000007
	ds_read_b32 v67, v7 offset:17088                           // 000000009464: D86C42C0 43000007
	ds_read_b32 v68, v7 offset:17152                           // 00000000946C: D86C4300 44000007
	ds_read_b32 v69, v7 offset:17216                           // 000000009474: D86C4340 45000007
	ds_read_b32 v70, v7 offset:17280                           // 00000000947C: D86C4380 46000007
	ds_read_b32 v71, v7 offset:17344                           // 000000009484: D86C43C0 47000007
	ds_read_b32 v72, v7 offset:17408                           // 00000000948C: D86C4400 48000007
	ds_read_b32 v73, v7 offset:17472                           // 000000009494: D86C4440 49000007
	ds_read_b32 v74, v7 offset:17536                           // 00000000949C: D86C4480 4A000007
	ds_read_b32 v75, v7 offset:17600                           // 0000000094A4: D86C44C0 4B000007
	ds_read_b32 v76, v7 offset:17664                           // 0000000094AC: D86C4500 4C000007
	ds_read_b32 v77, v7 offset:17728                           // 0000000094B4: D86C4540 4D000007
	ds_read_b32 v78, v7 offset:17792                           // 0000000094BC: D86C4580 4E000007
	ds_read_b32 v79, v7 offset:17856                           // 0000000094C4: D86C45C0 4F000007
	buffer_load_dwordx4 a[60:63], v29, s[16:19], 0 offen offset:1024// 0000000094CC: E05C1400 80843C1D
	v_mul_f32_e32 v176, v44, v176                              // 0000000094D4: 0B61612C
	v_mul_f32_e32 v177, v44, v177                              // 0000000094D8: 0B63632C
	v_mul_f32_e32 v178, v44, v178                              // 0000000094DC: 0B65652C
	v_mul_f32_e32 v179, v44, v179                              // 0000000094E0: 0B67672C
	v_mul_f32_e32 v180, v44, v180                              // 0000000094E4: 0B69692C
	v_mul_f32_e32 v181, v44, v181                              // 0000000094E8: 0B6B6B2C
	v_mul_f32_e32 v182, v44, v182                              // 0000000094EC: 0B6D6D2C
	v_mul_f32_e32 v183, v44, v183                              // 0000000094F0: 0B6F6F2C
	s_waitcnt lgkmcnt(0)                                       // 0000000094F4: BF8CC07F
	v_max3_f32 v48, v64, v65, v48                              // 0000000094F8: D1D30030 04C28340
	v_max3_f32 v48, v66, v67, v48                              // 000000009500: D1D30030 04C28742
	v_max3_f32 v48, v68, v69, v48                              // 000000009508: D1D30030 04C28B44
	v_max3_f32 v48, v70, v71, v48                              // 000000009510: D1D30030 04C28F46
	v_max3_f32 v48, v72, v73, v48                              // 000000009518: D1D30030 04C29348
	v_max3_f32 v48, v74, v75, v48                              // 000000009520: D1D30030 04C2974A
	v_max3_f32 v48, v76, v77, v48                              // 000000009528: D1D30030 04C29B4C
	v_max3_f32 v48, v78, v79, v48                              // 000000009530: D1D30030 04C29F4E
	buffer_load_dwordx4 a[96:99], v34, s[20:23], 0 offen       // 000000009538: E05C1000 80856022
	v_mov_b32_e32 v64, 0xff800000                              // 000000009540: 7E8002FF FF800000
	v_cmp_eq_u32_e64 s[40:41], v64, v11                        // 000000009548: D0CA0028 00021740
	s_nop 1                                                    // 000000009550: BF800001
	v_max_f32_e32 v15, v48, v11                                // 000000009554: 161E1730
	v_mul_f32_e32 v53, s64, v15                                // 000000009558: 0A6A1E40
	v_fma_f32 v112, v112, s64, -v53                            // 00000000955C: D1CB0070 84D48170
	v_fma_f32 v113, v113, s64, -v53                            // 000000009564: D1CB0071 84D48171
	v_fma_f32 v114, v114, s64, -v53                            // 00000000956C: D1CB0072 84D48172
	v_fma_f32 v115, v115, s64, -v53                            // 000000009574: D1CB0073 84D48173
	v_fma_f32 v116, v116, s64, -v53                            // 00000000957C: D1CB0074 84D48174
	v_fma_f32 v117, v117, s64, -v53                            // 000000009584: D1CB0075 84D48175
	v_fma_f32 v118, v118, s64, -v53                            // 00000000958C: D1CB0076 84D48176
	v_fma_f32 v119, v119, s64, -v53                            // 000000009594: D1CB0077 84D48177
	v_fma_f32 v120, v120, s64, -v53                            // 00000000959C: D1CB0078 84D48178
	v_fma_f32 v121, v121, s64, -v53                            // 0000000095A4: D1CB0079 84D48179
	v_fma_f32 v122, v122, s64, -v53                            // 0000000095AC: D1CB007A 84D4817A
	v_fma_f32 v123, v123, s64, -v53                            // 0000000095B4: D1CB007B 84D4817B
	v_fma_f32 v124, v124, s64, -v53                            // 0000000095BC: D1CB007C 84D4817C
	v_fma_f32 v125, v125, s64, -v53                            // 0000000095C4: D1CB007D 84D4817D
	v_fma_f32 v126, v126, s64, -v53                            // 0000000095CC: D1CB007E 84D4817E
	v_fma_f32 v127, v127, s64, -v53                            // 0000000095D4: D1CB007F 84D4817F
	buffer_load_dwordx4 a[100:103], v35, s[20:23], 0 offen     // 0000000095DC: E05C1000 80856423
	v_exp_f32_e32 v112, v112                                   // 0000000095E4: 7EE04170
	v_exp_f32_e32 v113, v113                                   // 0000000095E8: 7EE24171
	v_exp_f32_e32 v114, v114                                   // 0000000095EC: 7EE44172
	v_exp_f32_e32 v115, v115                                   // 0000000095F0: 7EE64173
	v_exp_f32_e32 v116, v116                                   // 0000000095F4: 7EE84174
	v_exp_f32_e32 v117, v117                                   // 0000000095F8: 7EEA4175
	v_exp_f32_e32 v118, v118                                   // 0000000095FC: 7EEC4176
	v_exp_f32_e32 v119, v119                                   // 000000009600: 7EEE4177
	v_exp_f32_e32 v120, v120                                   // 000000009604: 7EF04178
	v_exp_f32_e32 v121, v121                                   // 000000009608: 7EF24179
	v_exp_f32_e32 v122, v122                                   // 00000000960C: 7EF4417A
	v_exp_f32_e32 v123, v123                                   // 000000009610: 7EF6417B
	v_exp_f32_e32 v124, v124                                   // 000000009614: 7EF8417C
	v_exp_f32_e32 v125, v125                                   // 000000009618: 7EFA417D
	v_exp_f32_e32 v126, v126                                   // 00000000961C: 7EFC417E
	v_exp_f32_e32 v127, v127                                   // 000000009620: 7EFE417F
	buffer_load_dwordx4 a[104:107], v36, s[20:23], 0 offen     // 000000009624: E05C1000 80856824
	v_mul_f32_dpp v240, v252, v112 quad_perm:[0,0,0,0] row_mask:0xf bank_mask:0xf// 00000000962C: 0BE0E0FA FF0000FC
	v_mul_f32_dpp v241, v252, v113 quad_perm:[1,1,1,1] row_mask:0xf bank_mask:0xf// 000000009634: 0BE2E2FA FF0055FC
	v_mul_f32_dpp v242, v252, v114 quad_perm:[2,2,2,2] row_mask:0xf bank_mask:0xf// 00000000963C: 0BE4E4FA FF00AAFC
	v_mul_f32_dpp v243, v252, v115 quad_perm:[3,3,3,3] row_mask:0xf bank_mask:0xf// 000000009644: 0BE6E6FA FF00FFFC
	v_mul_f32_dpp v244, v253, v116 quad_perm:[0,0,0,0] row_mask:0xf bank_mask:0xf// 00000000964C: 0BE8E8FA FF0000FD
	v_mul_f32_dpp v245, v253, v117 quad_perm:[1,1,1,1] row_mask:0xf bank_mask:0xf// 000000009654: 0BEAEAFA FF0055FD
	v_mul_f32_dpp v246, v253, v118 quad_perm:[2,2,2,2] row_mask:0xf bank_mask:0xf// 00000000965C: 0BECECFA FF00AAFD
	v_mul_f32_dpp v247, v253, v119 quad_perm:[3,3,3,3] row_mask:0xf bank_mask:0xf// 000000009664: 0BEEEEFA FF00FFFD
	v_mul_f32_dpp v248, v254, v120 quad_perm:[0,0,0,0] row_mask:0xf bank_mask:0xf// 00000000966C: 0BF0F0FA FF0000FE
	v_mul_f32_dpp v249, v254, v121 quad_perm:[1,1,1,1] row_mask:0xf bank_mask:0xf// 000000009674: 0BF2F2FA FF0055FE
	v_mul_f32_dpp v250, v254, v122 quad_perm:[2,2,2,2] row_mask:0xf bank_mask:0xf// 00000000967C: 0BF4F4FA FF00AAFE
	v_mul_f32_dpp v251, v254, v123 quad_perm:[3,3,3,3] row_mask:0xf bank_mask:0xf// 000000009684: 0BF6F6FA FF00FFFE
	v_mul_f32_dpp v252, v255, v124 quad_perm:[0,0,0,0] row_mask:0xf bank_mask:0xf// 00000000968C: 0BF8F8FA FF0000FF
	v_mul_f32_dpp v253, v255, v125 quad_perm:[1,1,1,1] row_mask:0xf bank_mask:0xf// 000000009694: 0BFAFAFA FF0055FF
	v_mul_f32_dpp v254, v255, v126 quad_perm:[2,2,2,2] row_mask:0xf bank_mask:0xf// 00000000969C: 0BFCFCFA FF00AAFF
	v_mul_f32_dpp v255, v255, v127 quad_perm:[3,3,3,3] row_mask:0xf bank_mask:0xf// 0000000096A4: 0BFEFEFA FF00FFFF
	v_mov_b32_e32 v48, 0x358637bd                              // 0000000096AC: 7E6002FF 358637BD
	v_max3_f32 v48, |v240|, |v241|, v48                        // 0000000096B4: D1D30330 04C3E3F0
	v_max3_f32 v48, |v242|, |v243|, v48                        // 0000000096BC: D1D30330 04C3E7F2
	v_max3_f32 v48, |v244|, |v245|, v48                        // 0000000096C4: D1D30330 04C3EBF4
	v_max3_f32 v48, |v246|, |v247|, v48                        // 0000000096CC: D1D30330 04C3EFF6
	v_max3_f32 v48, |v248|, |v249|, v48                        // 0000000096D4: D1D30330 04C3F3F8
	v_max3_f32 v48, |v250|, |v251|, v48                        // 0000000096DC: D1D30330 04C3F7FA
	v_max3_f32 v48, |v252|, |v253|, v48                        // 0000000096E4: D1D30330 04C3FBFC
	v_max3_f32 v48, |v254|, |v255|, v48                        // 0000000096EC: D1D30330 04C3FFFE
	buffer_load_dwordx4 a[108:111], v37, s[20:23], 0 offen     // 0000000096F4: E05C1000 80856C25
	ds_write_b32 v8, v48 offset:20992                          // 0000000096FC: D81A5200 00003008
	v_sub_f32_e32 v49, v11, v15                                // 000000009704: 04621F0B
	v_cndmask_b32_e64 v49, v49, 0, s[40:41]                    // 000000009708: D1000031 00A10131
	v_mov_b32_e32 v11, v15                                     // 000000009710: 7E16030F
	v_mul_f32_e32 v49, s64, v49                                // 000000009714: 0A626240
	v_exp_f32_e32 v49, v49                                     // 000000009718: 7E624131
	s_waitcnt lgkmcnt(0)                                       // 00000000971C: BF8CC07F
	s_barrier                                                  // 000000009720: BF8A0000
	ds_read_b32 v64, v7 offset:20992                           // 000000009724: D86C5200 40000007
	ds_read_b32 v65, v7 offset:21056                           // 00000000972C: D86C5240 41000007
	ds_read_b32 v66, v7 offset:21120                           // 000000009734: D86C5280 42000007
	ds_read_b32 v67, v7 offset:21184                           // 00000000973C: D86C52C0 43000007
	ds_read_b32 v68, v7 offset:21248                           // 000000009744: D86C5300 44000007
	ds_read_b32 v69, v7 offset:21312                           // 00000000974C: D86C5340 45000007
	ds_read_b32 v70, v7 offset:21376                           // 000000009754: D86C5380 46000007
	ds_read_b32 v71, v7 offset:21440                           // 00000000975C: D86C53C0 47000007
	ds_read_b32 v72, v7 offset:21504                           // 000000009764: D86C5400 48000007
	ds_read_b32 v73, v7 offset:21568                           // 00000000976C: D86C5440 49000007
	ds_read_b32 v74, v7 offset:21632                           // 000000009774: D86C5480 4A000007
	ds_read_b32 v75, v7 offset:21696                           // 00000000977C: D86C54C0 4B000007
	ds_read_b32 v76, v7 offset:21760                           // 000000009784: D86C5500 4C000007
	ds_read_b32 v77, v7 offset:21824                           // 00000000978C: D86C5540 4D000007
	ds_read_b32 v78, v7 offset:21888                           // 000000009794: D86C5580 4E000007
	ds_read_b32 v79, v7 offset:21952                           // 00000000979C: D86C55C0 4F000007
	v_mul_f32_e32 v38, v49, v38                                // 0000000097A4: 0A4C4D31
	v_mov_b32_e32 v15, v112                                    // 0000000097A8: 7E1E0370
	v_add_f32_e32 v15, v113, v15                               // 0000000097AC: 021E1F71
	v_add_f32_e32 v15, v114, v15                               // 0000000097B0: 021E1F72
	v_add_f32_e32 v15, v115, v15                               // 0000000097B4: 021E1F73
	v_add_f32_e32 v15, v116, v15                               // 0000000097B8: 021E1F74
	v_add_f32_e32 v15, v117, v15                               // 0000000097BC: 021E1F75
	v_add_f32_e32 v15, v118, v15                               // 0000000097C0: 021E1F76
	v_add_f32_e32 v15, v119, v15                               // 0000000097C4: 021E1F77
	v_add_f32_e32 v15, v120, v15                               // 0000000097C8: 021E1F78
	v_add_f32_e32 v15, v121, v15                               // 0000000097CC: 021E1F79
	v_add_f32_e32 v15, v122, v15                               // 0000000097D0: 021E1F7A
	v_add_f32_e32 v15, v123, v15                               // 0000000097D4: 021E1F7B
	v_add_f32_e32 v15, v124, v15                               // 0000000097D8: 021E1F7C
	v_add_f32_e32 v15, v125, v15                               // 0000000097DC: 021E1F7D
	v_add_f32_e32 v15, v126, v15                               // 0000000097E0: 021E1F7E
	v_add_f32_e32 v15, v127, v15                               // 0000000097E4: 021E1F7F
	v_add_f32_e32 v38, v15, v38                                // 0000000097E8: 024C4D0F
	s_waitcnt lgkmcnt(0)                                       // 0000000097EC: BF8CC07F
	v_max3_f32 v48, |v64|, |v65|, v48                          // 0000000097F0: D1D30330 04C28340
	v_max3_f32 v48, |v66|, |v67|, v48                          // 0000000097F8: D1D30330 04C28742
	v_max3_f32 v48, |v68|, |v69|, v48                          // 000000009800: D1D30330 04C28B44
	v_max3_f32 v48, |v70|, |v71|, v48                          // 000000009808: D1D30330 04C28F46
	v_max3_f32 v48, |v72|, |v73|, v48                          // 000000009810: D1D30330 04C29348
	v_max3_f32 v48, |v74|, |v75|, v48                          // 000000009818: D1D30330 04C2974A
	v_max3_f32 v48, |v76|, |v77|, v48                          // 000000009820: D1D30330 04C29B4C
	v_max3_f32 v48, |v78|, |v79|, v48                          // 000000009828: D1D30330 04C29F4E
	s_nop 2                                                    // 000000009830: BF800002
	v_rcp_f32_e32 v48, v48                                     // 000000009834: 7E604530
	s_nop 1                                                    // 000000009838: BF800001
	v_mul_f32_e32 v48, 0x43e00000, v48                         // 00000000983C: 0A6060FF 43E00000
	v_mul_f32_e32 v112, v48, v240                              // 000000009844: 0AE1E130
	v_mul_f32_e32 v113, v48, v241                              // 000000009848: 0AE3E330
	v_mul_f32_e32 v114, v48, v242                              // 00000000984C: 0AE5E530
	v_mul_f32_e32 v115, v48, v243                              // 000000009850: 0AE7E730
	v_mul_f32_e32 v116, v48, v244                              // 000000009854: 0AE9E930
	v_mul_f32_e32 v117, v48, v245                              // 000000009858: 0AEBEB30
	v_mul_f32_e32 v118, v48, v246                              // 00000000985C: 0AEDED30
	v_mul_f32_e32 v119, v48, v247                              // 000000009860: 0AEFEF30
	v_mul_f32_e32 v120, v48, v248                              // 000000009864: 0AF1F130
	v_mul_f32_e32 v121, v48, v249                              // 000000009868: 0AF3F330
	v_mul_f32_e32 v122, v48, v250                              // 00000000986C: 0AF5F530
	v_mul_f32_e32 v123, v48, v251                              // 000000009870: 0AF7F730
	v_mul_f32_e32 v124, v48, v252                              // 000000009874: 0AF9F930
	v_mul_f32_e32 v125, v48, v253                              // 000000009878: 0AFBFB30
	v_mul_f32_e32 v126, v48, v254                              // 00000000987C: 0AFDFD30
	v_mul_f32_e32 v127, v48, v255                              // 000000009880: 0AFFFF30
	v_cvt_pk_fp8_f32 v112, v112, v113                          // 000000009884: D2A20070 0002E370
	v_cvt_pk_fp8_f32 v112, v114, v115 op_sel:[0,0,1]           // 00000000988C: D2A24070 0002E772
	v_cvt_pk_fp8_f32 v113, v116, v117                          // 000000009894: D2A20071 0002EB74
	v_cvt_pk_fp8_f32 v113, v118, v119 op_sel:[0,0,1]           // 00000000989C: D2A24071 0002EF76
	v_cvt_pk_fp8_f32 v114, v120, v121                          // 0000000098A4: D2A20072 0002F378
	v_cvt_pk_fp8_f32 v114, v122, v123 op_sel:[0,0,1]           // 0000000098AC: D2A24072 0002F77A
	v_cvt_pk_fp8_f32 v115, v124, v125                          // 0000000098B4: D2A20073 0002FB7C
	v_cvt_pk_fp8_f32 v115, v126, v127 op_sel:[0,0,1]           // 0000000098BC: D2A24073 0002FF7E
	ds_write_b32 v10, v112 offset:25088                        // 0000000098C4: D81A6200 0000700A
	ds_write_b32 v10, v113 offset:26112                        // 0000000098CC: D81A6600 0000710A
	ds_write_b32 v10, v114 offset:27136                        // 0000000098D4: D81A6A00 0000720A
	ds_write_b32 v10, v115 offset:28160                        // 0000000098DC: D81A6E00 0000730A
	v_add_f32_e32 v208, v208, v176                             // 0000000098E4: 03A161D0
	v_add_f32_e32 v209, v209, v177                             // 0000000098E8: 03A363D1
	v_add_f32_e32 v210, v210, v178                             // 0000000098EC: 03A565D2
	v_add_f32_e32 v211, v211, v179                             // 0000000098F0: 03A767D3
	v_add_f32_e32 v212, v212, v180                             // 0000000098F4: 03A969D4
	v_add_f32_e32 v213, v213, v181                             // 0000000098F8: 03AB6BD5
	v_add_f32_e32 v214, v214, v182                             // 0000000098FC: 03AD6DD6
	v_add_f32_e32 v215, v215, v183                             // 000000009900: 03AF6FD7
	v_rcp_f32_e32 v44, v48                                     // 000000009904: 7E584530
	s_waitcnt lgkmcnt(0)                                       // 000000009908: BF8CC07F
	s_barrier                                                  // 00000000990C: BF8A0000
	ds_read_b64 v[112:113], v9 offset:25088                    // 000000009910: D8EC6200 70000009
	ds_read_b64 v[114:115], v9 offset:25216                    // 000000009918: D8EC6280 72000009
	ds_read_b64 v[116:117], v9 offset:26112                    // 000000009920: D8EC6600 74000009
	ds_read_b64 v[118:119], v9 offset:26240                    // 000000009928: D8EC6680 76000009
	ds_read_b64 v[120:121], v9 offset:27136                    // 000000009930: D8EC6A00 78000009
	ds_read_b64 v[122:123], v9 offset:27264                    // 000000009938: D8EC6A80 7A000009
	ds_read_b64 v[124:125], v9 offset:28160                    // 000000009940: D8EC6E00 7C000009
	ds_read_b64 v[126:127], v9 offset:28288                    // 000000009948: D8EC6E80 7E000009
	v_mov_b32_dpp v64, v42 row_shr:4 row_mask:0xf bank_mask:0xf// 000000009950: 7E8002FA FF01142A
	v_mov_b32_dpp v65, v42 row_shl:4 row_mask:0xf bank_mask:0xf// 000000009958: 7E8202FA FF01042A
	v_cndmask_b32_e64 v248, v42, v64, s[44:45]                 // 000000009960: D10000F8 00B2812A
	v_cndmask_b32_e64 v249, v65, v42, s[44:45]                 // 000000009968: D10000F9 00B25541
	v_mov_b32_dpp v64, v248 row_shr:8 row_mask:0xf bank_mask:0xf// 000000009970: 7E8002FA FF0118F8
	v_mov_b32_dpp v65, v248 row_shl:8 row_mask:0xf bank_mask:0xf// 000000009978: 7E8202FA FF0108F8
	v_mov_b32_dpp v66, v249 row_shr:8 row_mask:0xf bank_mask:0xf// 000000009980: 7E8402FA FF0118F9
	v_mov_b32_dpp v67, v249 row_shl:8 row_mask:0xf bank_mask:0xf// 000000009988: 7E8602FA FF0108F9
	v_mov_b32_e32 v68, v248                                    // 000000009990: 7E8803F8
	v_mov_b32_e32 v69, v249                                    // 000000009994: 7E8A03F9
	v_cndmask_b32_e64 v248, v68, v64, s[42:43]                 // 000000009998: D10000F8 00AA8144
	v_cndmask_b32_e64 v250, v68, v65, s[78:79]                 // 0000000099A0: D10000FA 013A8344
	v_cndmask_b32_e64 v249, v69, v66, s[42:43]                 // 0000000099A8: D10000F9 00AA8545
	v_cndmask_b32_e64 v251, v69, v67, s[78:79]                 // 0000000099B0: D10000FB 013A8745
	v_mov_b32_dpp v64, v57 row_shr:4 row_mask:0xf bank_mask:0xf// 0000000099B8: 7E8002FA FF011439
	v_mov_b32_dpp v65, v57 row_shl:4 row_mask:0xf bank_mask:0xf// 0000000099C0: 7E8202FA FF010439
	v_cndmask_b32_e64 v252, v57, v64, s[44:45]                 // 0000000099C8: D10000FC 00B28139
	v_cndmask_b32_e64 v253, v65, v57, s[44:45]                 // 0000000099D0: D10000FD 00B27341
	v_mov_b32_dpp v64, v252 row_shr:8 row_mask:0xf bank_mask:0xf// 0000000099D8: 7E8002FA FF0118FC
	v_mov_b32_dpp v65, v252 row_shl:8 row_mask:0xf bank_mask:0xf// 0000000099E0: 7E8202FA FF0108FC
	v_mov_b32_dpp v66, v253 row_shr:8 row_mask:0xf bank_mask:0xf// 0000000099E8: 7E8402FA FF0118FD
	v_mov_b32_dpp v67, v253 row_shl:8 row_mask:0xf bank_mask:0xf// 0000000099F0: 7E8602FA FF0108FD
	v_mov_b32_e32 v68, v252                                    // 0000000099F8: 7E8803FC
	v_mov_b32_e32 v69, v253                                    // 0000000099FC: 7E8A03FD
	v_cndmask_b32_e64 v252, v68, v64, s[42:43]                 // 000000009A00: D10000FC 00AA8144
	v_cndmask_b32_e64 v254, v68, v65, s[78:79]                 // 000000009A08: D10000FE 013A8344
	v_cndmask_b32_e64 v253, v69, v66, s[42:43]                 // 000000009A10: D10000FD 00AA8545
	v_cndmask_b32_e64 v255, v69, v67, s[78:79]                 // 000000009A18: D10000FF 013A8745
	v_mul_f32_e32 v128, v19, v128                              // 000000009A20: 0B010113
	v_mul_f32_e32 v129, v19, v129                              // 000000009A24: 0B030313
	v_mul_f32_e32 v130, v19, v130                              // 000000009A28: 0B050513
	v_mul_f32_e32 v131, v19, v131                              // 000000009A2C: 0B070713
	v_mul_f32_e32 v132, v19, v132                              // 000000009A30: 0B090913
	v_mul_f32_e32 v133, v19, v133                              // 000000009A34: 0B0B0B13
	v_mul_f32_e32 v134, v19, v134                              // 000000009A38: 0B0D0D13
	v_mul_f32_e32 v135, v19, v135                              // 000000009A3C: 0B0F0F13
	v_mul_f32_e32 v136, v19, v136                              // 000000009A40: 0B111113
	v_mul_f32_e32 v137, v19, v137                              // 000000009A44: 0B131313
	v_mul_f32_e32 v138, v19, v138                              // 000000009A48: 0B151513
	v_mul_f32_e32 v139, v19, v139                              // 000000009A4C: 0B171713
	v_mul_f32_e32 v140, v19, v140                              // 000000009A50: 0B191913
	v_mul_f32_e32 v141, v19, v141                              // 000000009A54: 0B1B1B13
	v_mul_f32_e32 v142, v19, v142                              // 000000009A58: 0B1D1D13
	v_mul_f32_e32 v143, v19, v143                              // 000000009A5C: 0B1F1F13
	v_mul_f32_dpp v128, v248, v128 quad_perm:[0,0,0,0] row_mask:0xf bank_mask:0xf// 000000009A60: 0B0100FA FF0000F8
	v_mul_f32_dpp v129, v248, v129 quad_perm:[1,1,1,1] row_mask:0xf bank_mask:0xf// 000000009A68: 0B0302FA FF0055F8
	v_mul_f32_dpp v130, v248, v130 quad_perm:[2,2,2,2] row_mask:0xf bank_mask:0xf// 000000009A70: 0B0504FA FF00AAF8
	v_mul_f32_dpp v131, v248, v131 quad_perm:[3,3,3,3] row_mask:0xf bank_mask:0xf// 000000009A78: 0B0706FA FF00FFF8
	v_mul_f32_dpp v132, v249, v132 quad_perm:[0,0,0,0] row_mask:0xf bank_mask:0xf// 000000009A80: 0B0908FA FF0000F9
	v_mul_f32_dpp v133, v249, v133 quad_perm:[1,1,1,1] row_mask:0xf bank_mask:0xf// 000000009A88: 0B0B0AFA FF0055F9
	v_mul_f32_dpp v134, v249, v134 quad_perm:[2,2,2,2] row_mask:0xf bank_mask:0xf// 000000009A90: 0B0D0CFA FF00AAF9
	v_mul_f32_dpp v135, v249, v135 quad_perm:[3,3,3,3] row_mask:0xf bank_mask:0xf// 000000009A98: 0B0F0EFA FF00FFF9
	v_mul_f32_dpp v136, v250, v136 quad_perm:[0,0,0,0] row_mask:0xf bank_mask:0xf// 000000009AA0: 0B1110FA FF0000FA
	v_mul_f32_dpp v137, v250, v137 quad_perm:[1,1,1,1] row_mask:0xf bank_mask:0xf// 000000009AA8: 0B1312FA FF0055FA
	v_mul_f32_dpp v138, v250, v138 quad_perm:[2,2,2,2] row_mask:0xf bank_mask:0xf// 000000009AB0: 0B1514FA FF00AAFA
	v_mul_f32_dpp v139, v250, v139 quad_perm:[3,3,3,3] row_mask:0xf bank_mask:0xf// 000000009AB8: 0B1716FA FF00FFFA
	v_mul_f32_dpp v140, v251, v140 quad_perm:[0,0,0,0] row_mask:0xf bank_mask:0xf// 000000009AC0: 0B1918FA FF0000FB
	v_mul_f32_dpp v141, v251, v141 quad_perm:[1,1,1,1] row_mask:0xf bank_mask:0xf// 000000009AC8: 0B1B1AFA FF0055FB
	v_mul_f32_dpp v142, v251, v142 quad_perm:[2,2,2,2] row_mask:0xf bank_mask:0xf// 000000009AD0: 0B1D1CFA FF00AAFB
	v_mul_f32_dpp v143, v251, v143 quad_perm:[3,3,3,3] row_mask:0xf bank_mask:0xf// 000000009AD8: 0B1F1EFA FF00FFFB
	v_mov_b32_e32 v48, v128                                    // 000000009AE0: 7E600380
	v_max3_f32 v48, v128, v129, v48                            // 000000009AE4: D1D30030 04C30380
	v_max3_f32 v48, v130, v131, v48                            // 000000009AEC: D1D30030 04C30782
	v_max3_f32 v48, v132, v133, v48                            // 000000009AF4: D1D30030 04C30B84
	v_max3_f32 v48, v134, v135, v48                            // 000000009AFC: D1D30030 04C30F86
	v_max3_f32 v48, v136, v137, v48                            // 000000009B04: D1D30030 04C31388
	v_max3_f32 v48, v138, v139, v48                            // 000000009B0C: D1D30030 04C3178A
	v_max3_f32 v48, v140, v141, v48                            // 000000009B14: D1D30030 04C31B8C
	v_max3_f32 v48, v142, v143, v48                            // 000000009B1C: D1D30030 04C31F8E
	ds_write_b32 v8, v48 offset:16896                          // 000000009B24: D81A4200 00003008
	v_mul_f32_e32 v216, v50, v216                              // 000000009B2C: 0BB1B132
	v_mul_f32_e32 v217, v50, v217                              // 000000009B30: 0BB3B332
	v_mul_f32_e32 v218, v50, v218                              // 000000009B34: 0BB5B532
	v_mul_f32_e32 v219, v50, v219                              // 000000009B38: 0BB7B732
	v_mul_f32_e32 v220, v50, v220                              // 000000009B3C: 0BB9B932
	v_mul_f32_e32 v221, v50, v221                              // 000000009B40: 0BBBBB32
	v_mul_f32_e32 v222, v50, v222                              // 000000009B44: 0BBDBD32
	v_mul_f32_e32 v223, v50, v223                              // 000000009B48: 0BBFBF32
	s_waitcnt lgkmcnt(0)                                       // 000000009B4C: BF8CC07F
	s_barrier                                                  // 000000009B50: BF8A0000
	ds_read_b32 v64, v7 offset:16896                           // 000000009B54: D86C4200 40000007
	ds_read_b32 v65, v7 offset:16960                           // 000000009B5C: D86C4240 41000007
	ds_read_b32 v66, v7 offset:17024                           // 000000009B64: D86C4280 42000007
	ds_read_b32 v67, v7 offset:17088                           // 000000009B6C: D86C42C0 43000007
	ds_read_b32 v68, v7 offset:17152                           // 000000009B74: D86C4300 44000007
	ds_read_b32 v69, v7 offset:17216                           // 000000009B7C: D86C4340 45000007
	ds_read_b32 v70, v7 offset:17280                           // 000000009B84: D86C4380 46000007
	ds_read_b32 v71, v7 offset:17344                           // 000000009B8C: D86C43C0 47000007
	ds_read_b32 v72, v7 offset:17408                           // 000000009B94: D86C4400 48000007
	ds_read_b32 v73, v7 offset:17472                           // 000000009B9C: D86C4440 49000007
	ds_read_b32 v74, v7 offset:17536                           // 000000009BA4: D86C4480 4A000007
	ds_read_b32 v75, v7 offset:17600                           // 000000009BAC: D86C44C0 4B000007
	ds_read_b32 v76, v7 offset:17664                           // 000000009BB4: D86C4500 4C000007
	ds_read_b32 v77, v7 offset:17728                           // 000000009BBC: D86C4540 4D000007
	ds_read_b32 v78, v7 offset:17792                           // 000000009BC4: D86C4580 4E000007
	ds_read_b32 v79, v7 offset:17856                           // 000000009BCC: D86C45C0 4F000007
	v_mul_f32_e32 v184, v45, v184                              // 000000009BD4: 0B71712D
	v_mul_f32_e32 v185, v45, v185                              // 000000009BD8: 0B73732D
	v_mul_f32_e32 v186, v45, v186                              // 000000009BDC: 0B75752D
	v_mul_f32_e32 v187, v45, v187                              // 000000009BE0: 0B77772D
	v_mul_f32_e32 v188, v45, v188                              // 000000009BE4: 0B79792D
	v_mul_f32_e32 v189, v45, v189                              // 000000009BE8: 0B7B7B2D
	v_mul_f32_e32 v190, v45, v190                              // 000000009BEC: 0B7D7D2D
	v_mul_f32_e32 v191, v45, v191                              // 000000009BF0: 0B7F7F2D
	s_waitcnt lgkmcnt(0)                                       // 000000009BF4: BF8CC07F
	v_max3_f32 v48, v64, v65, v48                              // 000000009BF8: D1D30030 04C28340
	v_max3_f32 v48, v66, v67, v48                              // 000000009C00: D1D30030 04C28742
	v_max3_f32 v48, v68, v69, v48                              // 000000009C08: D1D30030 04C28B44
	v_max3_f32 v48, v70, v71, v48                              // 000000009C10: D1D30030 04C28F46
	v_max3_f32 v48, v72, v73, v48                              // 000000009C18: D1D30030 04C29348
	v_max3_f32 v48, v74, v75, v48                              // 000000009C20: D1D30030 04C2974A
	v_max3_f32 v48, v76, v77, v48                              // 000000009C28: D1D30030 04C29B4C
	v_max3_f32 v48, v78, v79, v48                              // 000000009C30: D1D30030 04C29F4E
	v_mov_b32_e32 v64, 0xff800000                              // 000000009C38: 7E8002FF FF800000
	v_cmp_eq_u32_e64 s[40:41], v64, v12                        // 000000009C40: D0CA0028 00021940
	s_nop 1                                                    // 000000009C48: BF800001
	v_max_f32_e32 v15, v48, v12                                // 000000009C4C: 161E1930
	v_mul_f32_e32 v53, s64, v15                                // 000000009C50: 0A6A1E40
	v_fma_f32 v128, v128, s64, -v53                            // 000000009C54: D1CB0080 84D48180
	v_fma_f32 v129, v129, s64, -v53                            // 000000009C5C: D1CB0081 84D48181
	v_fma_f32 v130, v130, s64, -v53                            // 000000009C64: D1CB0082 84D48182
	v_fma_f32 v131, v131, s64, -v53                            // 000000009C6C: D1CB0083 84D48183
	v_fma_f32 v132, v132, s64, -v53                            // 000000009C74: D1CB0084 84D48184
	v_fma_f32 v133, v133, s64, -v53                            // 000000009C7C: D1CB0085 84D48185
	v_fma_f32 v134, v134, s64, -v53                            // 000000009C84: D1CB0086 84D48186
	v_fma_f32 v135, v135, s64, -v53                            // 000000009C8C: D1CB0087 84D48187
	v_fma_f32 v136, v136, s64, -v53                            // 000000009C94: D1CB0088 84D48188
	v_fma_f32 v137, v137, s64, -v53                            // 000000009C9C: D1CB0089 84D48189
	v_fma_f32 v138, v138, s64, -v53                            // 000000009CA4: D1CB008A 84D4818A
	v_fma_f32 v139, v139, s64, -v53                            // 000000009CAC: D1CB008B 84D4818B
	v_fma_f32 v140, v140, s64, -v53                            // 000000009CB4: D1CB008C 84D4818C
	v_fma_f32 v141, v141, s64, -v53                            // 000000009CBC: D1CB008D 84D4818D
	v_fma_f32 v142, v142, s64, -v53                            // 000000009CC4: D1CB008E 84D4818E
	v_fma_f32 v143, v143, s64, -v53                            // 000000009CCC: D1CB008F 84D4818F
	v_exp_f32_e32 v128, v128                                   // 000000009CD4: 7F004180
	v_exp_f32_e32 v129, v129                                   // 000000009CD8: 7F024181
	v_exp_f32_e32 v130, v130                                   // 000000009CDC: 7F044182
	v_exp_f32_e32 v131, v131                                   // 000000009CE0: 7F064183
	v_exp_f32_e32 v132, v132                                   // 000000009CE4: 7F084184
	v_exp_f32_e32 v133, v133                                   // 000000009CE8: 7F0A4185
	v_exp_f32_e32 v134, v134                                   // 000000009CEC: 7F0C4186
	v_exp_f32_e32 v135, v135                                   // 000000009CF0: 7F0E4187
	v_exp_f32_e32 v136, v136                                   // 000000009CF4: 7F104188
	v_exp_f32_e32 v137, v137                                   // 000000009CF8: 7F124189
	v_exp_f32_e32 v138, v138                                   // 000000009CFC: 7F14418A
	v_exp_f32_e32 v139, v139                                   // 000000009D00: 7F16418B
	v_exp_f32_e32 v140, v140                                   // 000000009D04: 7F18418C
	v_exp_f32_e32 v141, v141                                   // 000000009D08: 7F1A418D
	v_exp_f32_e32 v142, v142                                   // 000000009D0C: 7F1C418E
	v_exp_f32_e32 v143, v143                                   // 000000009D10: 7F1E418F
	v_mul_f32_dpp v240, v252, v128 quad_perm:[0,0,0,0] row_mask:0xf bank_mask:0xf// 000000009D14: 0BE100FA FF0000FC
	v_mul_f32_dpp v241, v252, v129 quad_perm:[1,1,1,1] row_mask:0xf bank_mask:0xf// 000000009D1C: 0BE302FA FF0055FC
	v_mul_f32_dpp v242, v252, v130 quad_perm:[2,2,2,2] row_mask:0xf bank_mask:0xf// 000000009D24: 0BE504FA FF00AAFC
	v_mul_f32_dpp v243, v252, v131 quad_perm:[3,3,3,3] row_mask:0xf bank_mask:0xf// 000000009D2C: 0BE706FA FF00FFFC
	v_mul_f32_dpp v244, v253, v132 quad_perm:[0,0,0,0] row_mask:0xf bank_mask:0xf// 000000009D34: 0BE908FA FF0000FD
	v_mul_f32_dpp v245, v253, v133 quad_perm:[1,1,1,1] row_mask:0xf bank_mask:0xf// 000000009D3C: 0BEB0AFA FF0055FD
	v_mul_f32_dpp v246, v253, v134 quad_perm:[2,2,2,2] row_mask:0xf bank_mask:0xf// 000000009D44: 0BED0CFA FF00AAFD
	v_mul_f32_dpp v247, v253, v135 quad_perm:[3,3,3,3] row_mask:0xf bank_mask:0xf// 000000009D4C: 0BEF0EFA FF00FFFD
	v_mul_f32_dpp v248, v254, v136 quad_perm:[0,0,0,0] row_mask:0xf bank_mask:0xf// 000000009D54: 0BF110FA FF0000FE
	v_mul_f32_dpp v249, v254, v137 quad_perm:[1,1,1,1] row_mask:0xf bank_mask:0xf// 000000009D5C: 0BF312FA FF0055FE
	v_mul_f32_dpp v250, v254, v138 quad_perm:[2,2,2,2] row_mask:0xf bank_mask:0xf// 000000009D64: 0BF514FA FF00AAFE
	v_mul_f32_dpp v251, v254, v139 quad_perm:[3,3,3,3] row_mask:0xf bank_mask:0xf// 000000009D6C: 0BF716FA FF00FFFE
	v_mul_f32_dpp v252, v255, v140 quad_perm:[0,0,0,0] row_mask:0xf bank_mask:0xf// 000000009D74: 0BF918FA FF0000FF
	v_mul_f32_dpp v253, v255, v141 quad_perm:[1,1,1,1] row_mask:0xf bank_mask:0xf// 000000009D7C: 0BFB1AFA FF0055FF
	v_mul_f32_dpp v254, v255, v142 quad_perm:[2,2,2,2] row_mask:0xf bank_mask:0xf// 000000009D84: 0BFD1CFA FF00AAFF
	v_mul_f32_dpp v255, v255, v143 quad_perm:[3,3,3,3] row_mask:0xf bank_mask:0xf// 000000009D8C: 0BFF1EFA FF00FFFF
	v_mov_b32_e32 v48, 0x358637bd                              // 000000009D94: 7E6002FF 358637BD
	v_max3_f32 v48, |v240|, |v241|, v48                        // 000000009D9C: D1D30330 04C3E3F0
	v_max3_f32 v48, |v242|, |v243|, v48                        // 000000009DA4: D1D30330 04C3E7F2
	v_max3_f32 v48, |v244|, |v245|, v48                        // 000000009DAC: D1D30330 04C3EBF4
	v_max3_f32 v48, |v246|, |v247|, v48                        // 000000009DB4: D1D30330 04C3EFF6
	v_max3_f32 v48, |v248|, |v249|, v48                        // 000000009DBC: D1D30330 04C3F3F8
	v_max3_f32 v48, |v250|, |v251|, v48                        // 000000009DC4: D1D30330 04C3F7FA
	v_max3_f32 v48, |v252|, |v253|, v48                        // 000000009DCC: D1D30330 04C3FBFC
	v_max3_f32 v48, |v254|, |v255|, v48                        // 000000009DD4: D1D30330 04C3FFFE
	ds_write_b32 v8, v48 offset:20992                          // 000000009DDC: D81A5200 00003008
	v_sub_f32_e32 v50, v12, v15                                // 000000009DE4: 04641F0C
	v_cndmask_b32_e64 v50, v50, 0, s[40:41]                    // 000000009DE8: D1000032 00A10132
	v_mov_b32_e32 v12, v15                                     // 000000009DF0: 7E18030F
	v_mul_f32_e32 v50, s64, v50                                // 000000009DF4: 0A646440
	v_exp_f32_e32 v50, v50                                     // 000000009DF8: 7E644132
	s_waitcnt lgkmcnt(0)                                       // 000000009DFC: BF8CC07F
	s_barrier                                                  // 000000009E00: BF8A0000
	ds_read_b32 v64, v7 offset:20992                           // 000000009E04: D86C5200 40000007
	ds_read_b32 v65, v7 offset:21056                           // 000000009E0C: D86C5240 41000007
	ds_read_b32 v66, v7 offset:21120                           // 000000009E14: D86C5280 42000007
	ds_read_b32 v67, v7 offset:21184                           // 000000009E1C: D86C52C0 43000007
	ds_read_b32 v68, v7 offset:21248                           // 000000009E24: D86C5300 44000007
	ds_read_b32 v69, v7 offset:21312                           // 000000009E2C: D86C5340 45000007
	ds_read_b32 v70, v7 offset:21376                           // 000000009E34: D86C5380 46000007
	ds_read_b32 v71, v7 offset:21440                           // 000000009E3C: D86C53C0 47000007
	ds_read_b32 v72, v7 offset:21504                           // 000000009E44: D86C5400 48000007
	ds_read_b32 v73, v7 offset:21568                           // 000000009E4C: D86C5440 49000007
	ds_read_b32 v74, v7 offset:21632                           // 000000009E54: D86C5480 4A000007
	ds_read_b32 v75, v7 offset:21696                           // 000000009E5C: D86C54C0 4B000007
	ds_read_b32 v76, v7 offset:21760                           // 000000009E64: D86C5500 4C000007
	ds_read_b32 v77, v7 offset:21824                           // 000000009E6C: D86C5540 4D000007
	ds_read_b32 v78, v7 offset:21888                           // 000000009E74: D86C5580 4E000007
	ds_read_b32 v79, v7 offset:21952                           // 000000009E7C: D86C55C0 4F000007
	v_mul_f32_e32 v39, v50, v39                                // 000000009E84: 0A4E4F32
	v_mov_b32_e32 v15, v128                                    // 000000009E88: 7E1E0380
	v_add_f32_e32 v15, v129, v15                               // 000000009E8C: 021E1F81
	v_add_f32_e32 v15, v130, v15                               // 000000009E90: 021E1F82
	v_add_f32_e32 v15, v131, v15                               // 000000009E94: 021E1F83
	v_add_f32_e32 v15, v132, v15                               // 000000009E98: 021E1F84
	v_add_f32_e32 v15, v133, v15                               // 000000009E9C: 021E1F85
	v_add_f32_e32 v15, v134, v15                               // 000000009EA0: 021E1F86
	v_add_f32_e32 v15, v135, v15                               // 000000009EA4: 021E1F87
	v_add_f32_e32 v15, v136, v15                               // 000000009EA8: 021E1F88
	v_add_f32_e32 v15, v137, v15                               // 000000009EAC: 021E1F89
	v_add_f32_e32 v15, v138, v15                               // 000000009EB0: 021E1F8A
	v_add_f32_e32 v15, v139, v15                               // 000000009EB4: 021E1F8B
	v_add_f32_e32 v15, v140, v15                               // 000000009EB8: 021E1F8C
	v_add_f32_e32 v15, v141, v15                               // 000000009EBC: 021E1F8D
	v_add_f32_e32 v15, v142, v15                               // 000000009EC0: 021E1F8E
	v_add_f32_e32 v15, v143, v15                               // 000000009EC4: 021E1F8F
	v_add_f32_e32 v39, v15, v39                                // 000000009EC8: 024E4F0F
	s_waitcnt lgkmcnt(0)                                       // 000000009ECC: BF8CC07F
	v_max3_f32 v48, |v64|, |v65|, v48                          // 000000009ED0: D1D30330 04C28340
	v_max3_f32 v48, |v66|, |v67|, v48                          // 000000009ED8: D1D30330 04C28742
	v_max3_f32 v48, |v68|, |v69|, v48                          // 000000009EE0: D1D30330 04C28B44
	v_max3_f32 v48, |v70|, |v71|, v48                          // 000000009EE8: D1D30330 04C28F46
	v_max3_f32 v48, |v72|, |v73|, v48                          // 000000009EF0: D1D30330 04C29348
	v_max3_f32 v48, |v74|, |v75|, v48                          // 000000009EF8: D1D30330 04C2974A
	v_max3_f32 v48, |v76|, |v77|, v48                          // 000000009F00: D1D30330 04C29B4C
	v_max3_f32 v48, |v78|, |v79|, v48                          // 000000009F08: D1D30330 04C29F4E
	s_nop 2                                                    // 000000009F10: BF800002
	v_rcp_f32_e32 v48, v48                                     // 000000009F14: 7E604530
	s_nop 1                                                    // 000000009F18: BF800001
	v_mul_f32_e32 v48, 0x43e00000, v48                         // 000000009F1C: 0A6060FF 43E00000
	v_mul_f32_e32 v128, v48, v240                              // 000000009F24: 0B01E130
	v_mul_f32_e32 v129, v48, v241                              // 000000009F28: 0B03E330
	v_mul_f32_e32 v130, v48, v242                              // 000000009F2C: 0B05E530
	v_mul_f32_e32 v131, v48, v243                              // 000000009F30: 0B07E730
	v_mul_f32_e32 v132, v48, v244                              // 000000009F34: 0B09E930
	v_mul_f32_e32 v133, v48, v245                              // 000000009F38: 0B0BEB30
	v_mul_f32_e32 v134, v48, v246                              // 000000009F3C: 0B0DED30
	v_mul_f32_e32 v135, v48, v247                              // 000000009F40: 0B0FEF30
	v_mul_f32_e32 v136, v48, v248                              // 000000009F44: 0B11F130
	v_mul_f32_e32 v137, v48, v249                              // 000000009F48: 0B13F330
	v_mul_f32_e32 v138, v48, v250                              // 000000009F4C: 0B15F530
	v_mul_f32_e32 v139, v48, v251                              // 000000009F50: 0B17F730
	v_mul_f32_e32 v140, v48, v252                              // 000000009F54: 0B19F930
	v_mul_f32_e32 v141, v48, v253                              // 000000009F58: 0B1BFB30
	v_mul_f32_e32 v142, v48, v254                              // 000000009F5C: 0B1DFD30
	v_mul_f32_e32 v143, v48, v255                              // 000000009F60: 0B1FFF30
	v_cvt_pk_fp8_f32 v128, v128, v129                          // 000000009F64: D2A20080 00030380
	v_cvt_pk_fp8_f32 v128, v130, v131 op_sel:[0,0,1]           // 000000009F6C: D2A24080 00030782
	v_cvt_pk_fp8_f32 v129, v132, v133                          // 000000009F74: D2A20081 00030B84
	v_cvt_pk_fp8_f32 v129, v134, v135 op_sel:[0,0,1]           // 000000009F7C: D2A24081 00030F86
	v_cvt_pk_fp8_f32 v130, v136, v137                          // 000000009F84: D2A20082 00031388
	v_cvt_pk_fp8_f32 v130, v138, v139 op_sel:[0,0,1]           // 000000009F8C: D2A24082 0003178A
	v_cvt_pk_fp8_f32 v131, v140, v141                          // 000000009F94: D2A20083 00031B8C
	v_cvt_pk_fp8_f32 v131, v142, v143 op_sel:[0,0,1]           // 000000009F9C: D2A24083 00031F8E
	ds_write_b32 v10, v128 offset:29184                        // 000000009FA4: D81A7200 0000800A
	ds_write_b32 v10, v129 offset:30208                        // 000000009FAC: D81A7600 0000810A
	ds_write_b32 v10, v130 offset:31232                        // 000000009FB4: D81A7A00 0000820A
	ds_write_b32 v10, v131 offset:32256                        // 000000009FBC: D81A7E00 0000830A
	v_add_f32_e32 v216, v216, v184                             // 000000009FC4: 03B171D8
	v_add_f32_e32 v217, v217, v185                             // 000000009FC8: 03B373D9
	v_add_f32_e32 v218, v218, v186                             // 000000009FCC: 03B575DA
	v_add_f32_e32 v219, v219, v187                             // 000000009FD0: 03B777DB
	v_add_f32_e32 v220, v220, v188                             // 000000009FD4: 03B979DC
	v_add_f32_e32 v221, v221, v189                             // 000000009FD8: 03BB7BDD
	v_add_f32_e32 v222, v222, v190                             // 000000009FDC: 03BD7DDE
	v_add_f32_e32 v223, v223, v191                             // 000000009FE0: 03BF7FDF
	v_rcp_f32_e32 v45, v48                                     // 000000009FE4: 7E5A4530
	s_waitcnt lgkmcnt(0)                                       // 000000009FE8: BF8CC07F
	s_barrier                                                  // 000000009FEC: BF8A0000
	ds_read_b64 v[128:129], v9 offset:29184                    // 000000009FF0: D8EC7200 80000009
	ds_read_b64 v[130:131], v9 offset:29312                    // 000000009FF8: D8EC7280 82000009
	ds_read_b64 v[132:133], v9 offset:30208                    // 00000000A000: D8EC7600 84000009
	ds_read_b64 v[134:135], v9 offset:30336                    // 00000000A008: D8EC7680 86000009
	ds_read_b64 v[136:137], v9 offset:31232                    // 00000000A010: D8EC7A00 88000009
	ds_read_b64 v[138:139], v9 offset:31360                    // 00000000A018: D8EC7A80 8A000009
	ds_read_b64 v[140:141], v9 offset:32256                    // 00000000A020: D8EC7E00 8C000009
	ds_read_b64 v[142:143], v9 offset:32384                    // 00000000A028: D8EC7E80 8E000009
	s_waitcnt vmcnt(15)                                        // 00000000A030: BF8C0F7F
	v_mfma_f32_16x16x32_fp8_fp8 v[176:179], a[64:65], v[112:113], 0// 00000000A034: D3F300B0 0A02E140
	buffer_load_dwordx4 a[112:115], v34, s[20:23], 0 offen offset:1024// 00000000A03C: E05C1400 80857022
	v_mfma_f32_16x16x32_fp8_fp8 v[176:179], a[66:67], v[114:115], v[176:179]// 00000000A044: D3F300B0 0EC2E542
	v_mfma_f32_16x16x32_fp8_fp8 v[176:179], a[68:69], v[116:117], v[176:179]// 00000000A04C: D3F300B0 0EC2E944
	v_mfma_f32_16x16x32_fp8_fp8 v[176:179], a[70:71], v[118:119], v[176:179]// 00000000A054: D3F300B0 0EC2ED46
	v_mfma_f32_16x16x32_fp8_fp8 v[176:179], a[72:73], v[120:121], v[176:179]// 00000000A05C: D3F300B0 0EC2F148
	buffer_load_dwordx4 a[116:119], v35, s[20:23], 0 offen offset:1024// 00000000A064: E05C1400 80857423
	v_mfma_f32_16x16x32_fp8_fp8 v[176:179], a[74:75], v[122:123], v[176:179]// 00000000A06C: D3F300B0 0EC2F54A
	v_mfma_f32_16x16x32_fp8_fp8 v[176:179], a[76:77], v[124:125], v[176:179]// 00000000A074: D3F300B0 0EC2F94C
	v_mfma_f32_16x16x32_fp8_fp8 v[176:179], a[78:79], v[126:127], v[176:179]// 00000000A07C: D3F300B0 0EC2FD4E
	v_mfma_f32_16x16x32_fp8_fp8 v[180:183], a[80:81], v[112:113], 0// 00000000A084: D3F300B4 0A02E150
	buffer_load_dwordx4 a[120:123], v36, s[20:23], 0 offen offset:1024// 00000000A08C: E05C1400 80857824
	v_mfma_f32_16x16x32_fp8_fp8 v[180:183], a[82:83], v[114:115], v[180:183]// 00000000A094: D3F300B4 0ED2E552
	v_mfma_f32_16x16x32_fp8_fp8 v[180:183], a[84:85], v[116:117], v[180:183]// 00000000A09C: D3F300B4 0ED2E954
	v_mfma_f32_16x16x32_fp8_fp8 v[180:183], a[86:87], v[118:119], v[180:183]// 00000000A0A4: D3F300B4 0ED2ED56
	v_mfma_f32_16x16x32_fp8_fp8 v[180:183], a[88:89], v[120:121], v[180:183]// 00000000A0AC: D3F300B4 0ED2F158
	buffer_load_dwordx4 a[124:127], v37, s[20:23], 0 offen offset:1024// 00000000A0B4: E05C1400 80857C25
	v_mfma_f32_16x16x32_fp8_fp8 v[180:183], a[90:91], v[122:123], v[180:183]// 00000000A0BC: D3F300B4 0ED2F55A
	v_mfma_f32_16x16x32_fp8_fp8 v[180:183], a[92:93], v[124:125], v[180:183]// 00000000A0C4: D3F300B4 0ED2F95C
	s_lshr_b32 s57, s70, 4                                     // 00000000A0CC: 8F398446
	s_add_u32 s57, 48, s57                                     // 00000000A0D0: 803939B0
	v_mfma_f32_16x16x32_fp8_fp8 v[180:183], a[94:95], v[126:127], v[180:183]// 00000000A0D4: D3F300B4 0ED2FD5E
	s_cmp_ge_u32 s57, s73                                      // 00000000A0DC: BF094939
	s_cselect_b32 s56, 0, s56                                  // 00000000A0E0: 85383880
	v_mfma_f32_16x16x32_fp8_fp8 v[184:187], a[64:65], v[128:129], 0// 00000000A0E4: D3F300B8 0A030140
	v_mfma_f32_16x16x32_fp8_fp8 v[184:187], a[66:67], v[130:131], v[184:187]// 00000000A0EC: D3F300B8 0EE30542
	v_mfma_f32_16x16x32_fp8_fp8 v[184:187], a[68:69], v[132:133], v[184:187]// 00000000A0F4: D3F300B8 0EE30944
	v_mfma_f32_16x16x32_fp8_fp8 v[184:187], a[70:71], v[134:135], v[184:187]// 00000000A0FC: D3F300B8 0EE30D46
	v_mfma_f32_16x16x32_fp8_fp8 v[184:187], a[72:73], v[136:137], v[184:187]// 00000000A104: D3F300B8 0EE31148
	v_mfma_f32_16x16x32_fp8_fp8 v[184:187], a[74:75], v[138:139], v[184:187]// 00000000A10C: D3F300B8 0EE3154A
	v_mfma_f32_16x16x32_fp8_fp8 v[184:187], a[76:77], v[140:141], v[184:187]// 00000000A114: D3F300B8 0EE3194C
	v_mfma_f32_16x16x32_fp8_fp8 v[184:187], a[78:79], v[142:143], v[184:187]// 00000000A11C: D3F300B8 0EE31D4E
	v_mfma_f32_16x16x32_fp8_fp8 v[188:191], a[80:81], v[128:129], 0// 00000000A124: D3F300BC 0A030150
	v_mfma_f32_16x16x32_fp8_fp8 v[188:191], a[82:83], v[130:131], v[188:191]// 00000000A12C: D3F300BC 0EF30552
	v_mfma_f32_16x16x32_fp8_fp8 v[188:191], a[84:85], v[132:133], v[188:191]// 00000000A134: D3F300BC 0EF30954
	v_mfma_f32_16x16x32_fp8_fp8 v[188:191], a[86:87], v[134:135], v[188:191]// 00000000A13C: D3F300BC 0EF30D56
	v_mfma_f32_16x16x32_fp8_fp8 v[188:191], a[88:89], v[136:137], v[188:191]// 00000000A144: D3F300BC 0EF31158
	v_mfma_f32_16x16x32_fp8_fp8 v[188:191], a[90:91], v[138:139], v[188:191]// 00000000A14C: D3F300BC 0EF3155A
	v_mfma_f32_16x16x32_fp8_fp8 v[188:191], a[92:93], v[140:141], v[188:191]// 00000000A154: D3F300BC 0EF3195C
	v_mfma_f32_16x16x32_fp8_fp8 v[188:191], a[94:95], v[142:143], v[188:191]// 00000000A15C: D3F300BC 0EF31D5E
	v_add_u32_e32 v1, s56, v1                                  // 00000000A164: 68020238
	s_addk_i32 s70, 0x100                                      // 00000000A168: B7460100
	s_cmp_lt_i32 s70, s71                                      // 00000000A16C: BF044746
	s_cbranch_scc0 label_1B9C                                  // 00000000A170: BF84FBBF
	s_waitcnt vmcnt(8) lgkmcnt(0)                              // 00000000A174: BF8C0078
	v_mul_u32_u24_dpp v64, v16, v54 row_newbcast:0 row_mask:0xf bank_mask:0xf// 00000000A178: 10806CFA FF015010
	v_mul_u32_u24_dpp v65, v16, v54 row_newbcast:4 row_mask:0xf bank_mask:0xf// 00000000A180: 10826CFA FF015410
	v_mul_u32_u24_dpp v66, v16, v54 row_newbcast:8 row_mask:0xf bank_mask:0xf// 00000000A188: 10846CFA FF015810
	v_mul_u32_u24_dpp v67, v16, v54 row_newbcast:12 row_mask:0xf bank_mask:0xf// 00000000A190: 10866CFA FF015C10
	v_add_u32_e32 v22, v64, v5                                 // 00000000A198: 682C0B40
	v_add_u32_e32 v23, v65, v5                                 // 00000000A19C: 682E0B41
	v_add_u32_e32 v24, v66, v5                                 // 00000000A1A0: 68300B42
	v_add_u32_e32 v25, v67, v5                                 // 00000000A1A4: 68320B43
	v_mul_u32_u24_dpp v64, v16, v63 quad_perm:[0,0,0,0] row_mask:0xf bank_mask:0xf// 00000000A1A8: 10807EFA FF000010
	v_add_u32_e32 v2, v64, v59                                 // 00000000A1B0: 68047740
	v_mul_u32_u24_dpp v64, v16, v63 quad_perm:[0,0,0,0] row_mask:0xf bank_mask:0xf// 00000000A1B4: 10807EFA FF000010
	v_add_u32_e32 v55, v64, v60                                // 00000000A1BC: 686E7940
	v_mfma_f32_16x16x32_fp8_fp8 v[112:115], a[32:33], v[80:81], 0// 00000000A1C0: D3F30070 0A02A120
	buffer_load_dwordx4 a[0:3], v22, s[16:19], 0 offen         // 00000000A1C8: E05C1000 80840016
	v_mfma_f32_16x16x32_fp8_fp8 v[112:115], a[34:35], v[82:83], v[112:115]// 00000000A1D0: D3F30070 0DC2A522
	v_mfma_f32_16x16x32_fp8_fp8 v[112:115], a[36:37], v[84:85], v[112:115]// 00000000A1D8: D3F30070 0DC2A924
	buffer_load_dword v17, v1, s[24:27], 0 offen               // 00000000A1E0: E0501000 80061101
	v_mfma_f32_16x16x32_fp8_fp8 v[112:115], a[38:39], v[86:87], v[112:115]// 00000000A1E8: D3F30070 0DC2AD26
	v_mfma_f32_16x16x32_fp8_fp8 v[116:119], a[40:41], v[80:81], 0// 00000000A1F0: D3F30074 0A02A128
	buffer_load_dwordx4 a[4:7], v22, s[16:19], 0 offen offset:1024// 00000000A1F8: E05C1400 80840416
	v_mfma_f32_16x16x32_fp8_fp8 v[116:119], a[42:43], v[82:83], v[116:119]// 00000000A200: D3F30074 0DD2A52A
	v_mfma_f32_16x16x32_fp8_fp8 v[116:119], a[44:45], v[84:85], v[116:119]// 00000000A208: D3F30074 0DD2A92C
	v_mfma_f32_16x16x32_fp8_fp8 v[116:119], a[46:47], v[86:87], v[116:119]// 00000000A210: D3F30074 0DD2AD2E
	v_mfma_f32_16x16x32_fp8_fp8 v[120:123], a[48:49], v[80:81], 0// 00000000A218: D3F30078 0A02A130
	buffer_load_dwordx4 a[8:11], v23, s[16:19], 0 offen        // 00000000A220: E05C1000 80840817
	v_mfma_f32_16x16x32_fp8_fp8 v[120:123], a[50:51], v[82:83], v[120:123]// 00000000A228: D3F30078 0DE2A532
	v_mfma_f32_16x16x32_fp8_fp8 v[120:123], a[52:53], v[84:85], v[120:123]// 00000000A230: D3F30078 0DE2A934
	v_mfma_f32_16x16x32_fp8_fp8 v[120:123], a[54:55], v[86:87], v[120:123]// 00000000A238: D3F30078 0DE2AD36
	v_mfma_f32_16x16x32_fp8_fp8 v[124:127], a[56:57], v[80:81], 0// 00000000A240: D3F3007C 0A02A138
	buffer_load_dwordx4 a[12:15], v23, s[16:19], 0 offen offset:1024// 00000000A248: E05C1400 80840C17
	v_mfma_f32_16x16x32_fp8_fp8 v[124:127], a[58:59], v[82:83], v[124:127]// 00000000A250: D3F3007C 0DF2A53A
	v_mfma_f32_16x16x32_fp8_fp8 v[124:127], a[60:61], v[84:85], v[124:127]// 00000000A258: D3F3007C 0DF2A93C
	v_mfma_f32_16x16x32_fp8_fp8 v[124:127], a[62:63], v[86:87], v[124:127]// 00000000A260: D3F3007C 0DF2AD3E
	v_mfma_f32_16x16x32_fp8_fp8 v[128:131], a[32:33], v[88:89], 0// 00000000A268: D3F30080 0A02B120
	v_mfma_f32_16x16x32_fp8_fp8 v[128:131], a[34:35], v[90:91], v[128:131]// 00000000A270: D3F30080 0E02B522
	v_mfma_f32_16x16x32_fp8_fp8 v[128:131], a[36:37], v[92:93], v[128:131]// 00000000A278: D3F30080 0E02B924
	v_mfma_f32_16x16x32_fp8_fp8 v[128:131], a[38:39], v[94:95], v[128:131]// 00000000A280: D3F30080 0E02BD26
	v_mfma_f32_16x16x32_fp8_fp8 v[132:135], a[40:41], v[88:89], 0// 00000000A288: D3F30084 0A02B128
	v_mfma_f32_16x16x32_fp8_fp8 v[132:135], a[42:43], v[90:91], v[132:135]// 00000000A290: D3F30084 0E12B52A
	v_mfma_f32_16x16x32_fp8_fp8 v[132:135], a[44:45], v[92:93], v[132:135]// 00000000A298: D3F30084 0E12B92C
	v_mfma_f32_16x16x32_fp8_fp8 v[132:135], a[46:47], v[94:95], v[132:135]// 00000000A2A0: D3F30084 0E12BD2E
	v_mfma_f32_16x16x32_fp8_fp8 v[136:139], a[48:49], v[88:89], 0// 00000000A2A8: D3F30088 0A02B130
	v_mfma_f32_16x16x32_fp8_fp8 v[136:139], a[50:51], v[90:91], v[136:139]// 00000000A2B0: D3F30088 0E22B532
	v_mfma_f32_16x16x32_fp8_fp8 v[136:139], a[52:53], v[92:93], v[136:139]// 00000000A2B8: D3F30088 0E22B934
	v_mfma_f32_16x16x32_fp8_fp8 v[136:139], a[54:55], v[94:95], v[136:139]// 00000000A2C0: D3F30088 0E22BD36
	v_mfma_f32_16x16x32_fp8_fp8 v[140:143], a[56:57], v[88:89], 0// 00000000A2C8: D3F3008C 0A02B138
	v_mfma_f32_16x16x32_fp8_fp8 v[140:143], a[58:59], v[90:91], v[140:143]// 00000000A2D0: D3F3008C 0E32B53A
	v_mfma_f32_16x16x32_fp8_fp8 v[140:143], a[60:61], v[92:93], v[140:143]// 00000000A2D8: D3F3008C 0E32B93C
	v_mfma_f32_16x16x32_fp8_fp8 v[140:143], a[62:63], v[94:95], v[140:143]// 00000000A2E0: D3F3008C 0E32BD3E
	buffer_load_dword v42, v2, s[32:35], 0 offen               // 00000000A2E8: E0501000 80082A02
	v_mov_b32_dpp v64, v43 row_shr:4 row_mask:0xf bank_mask:0xf// 00000000A2F0: 7E8002FA FF01142B
	v_mov_b32_dpp v65, v43 row_shl:4 row_mask:0xf bank_mask:0xf// 00000000A2F8: 7E8202FA FF01042B
	v_cndmask_b32_e64 v248, v43, v64, s[44:45]                 // 00000000A300: D10000F8 00B2812B
	v_cndmask_b32_e64 v249, v65, v43, s[44:45]                 // 00000000A308: D10000F9 00B25741
	v_mov_b32_dpp v64, v248 row_shr:8 row_mask:0xf bank_mask:0xf// 00000000A310: 7E8002FA FF0118F8
	v_mov_b32_dpp v65, v248 row_shl:8 row_mask:0xf bank_mask:0xf// 00000000A318: 7E8202FA FF0108F8
	v_mov_b32_dpp v66, v249 row_shr:8 row_mask:0xf bank_mask:0xf// 00000000A320: 7E8402FA FF0118F9
	v_mov_b32_dpp v67, v249 row_shl:8 row_mask:0xf bank_mask:0xf// 00000000A328: 7E8602FA FF0108F9
	v_mov_b32_e32 v68, v248                                    // 00000000A330: 7E8803F8
	v_mov_b32_e32 v69, v249                                    // 00000000A334: 7E8A03F9
	v_cndmask_b32_e64 v248, v68, v64, s[42:43]                 // 00000000A338: D10000F8 00AA8144
	v_cndmask_b32_e64 v250, v68, v65, s[78:79]                 // 00000000A340: D10000FA 013A8344
	v_cndmask_b32_e64 v249, v69, v66, s[42:43]                 // 00000000A348: D10000F9 00AA8545
	v_cndmask_b32_e64 v251, v69, v67, s[78:79]                 // 00000000A350: D10000FB 013A8745
	v_mov_b32_dpp v64, v58 row_shr:4 row_mask:0xf bank_mask:0xf// 00000000A358: 7E8002FA FF01143A
	v_mov_b32_dpp v65, v58 row_shl:4 row_mask:0xf bank_mask:0xf// 00000000A360: 7E8202FA FF01043A
	v_cndmask_b32_e64 v252, v58, v64, s[44:45]                 // 00000000A368: D10000FC 00B2813A
	v_cndmask_b32_e64 v253, v65, v58, s[44:45]                 // 00000000A370: D10000FD 00B27541
	v_mov_b32_dpp v64, v252 row_shr:8 row_mask:0xf bank_mask:0xf// 00000000A378: 7E8002FA FF0118FC
	v_mov_b32_dpp v65, v252 row_shl:8 row_mask:0xf bank_mask:0xf// 00000000A380: 7E8202FA FF0108FC
	v_mov_b32_dpp v66, v253 row_shr:8 row_mask:0xf bank_mask:0xf// 00000000A388: 7E8402FA FF0118FD
	v_mov_b32_dpp v67, v253 row_shl:8 row_mask:0xf bank_mask:0xf// 00000000A390: 7E8602FA FF0108FD
	v_mov_b32_e32 v68, v252                                    // 00000000A398: 7E8803FC
	v_mov_b32_e32 v69, v253                                    // 00000000A39C: 7E8A03FD
	v_cndmask_b32_e64 v252, v68, v64, s[42:43]                 // 00000000A3A0: D10000FC 00AA8144
	v_cndmask_b32_e64 v254, v68, v65, s[78:79]                 // 00000000A3A8: D10000FE 013A8344
	v_cndmask_b32_e64 v253, v69, v66, s[42:43]                 // 00000000A3B0: D10000FD 00AA8545
	v_cndmask_b32_e64 v255, v69, v67, s[78:79]                 // 00000000A3B8: D10000FF 013A8745
	buffer_load_dword v57, v55, s[36:39], 0 offen              // 00000000A3C0: E0501000 80093937
	v_mul_f32_e32 v112, v18, v112                              // 00000000A3C8: 0AE0E112
	v_mul_f32_e32 v113, v18, v113                              // 00000000A3CC: 0AE2E312
	v_mul_f32_e32 v114, v18, v114                              // 00000000A3D0: 0AE4E512
	v_mul_f32_e32 v115, v18, v115                              // 00000000A3D4: 0AE6E712
	v_mul_f32_e32 v116, v18, v116                              // 00000000A3D8: 0AE8E912
	v_mul_f32_e32 v117, v18, v117                              // 00000000A3DC: 0AEAEB12
	v_mul_f32_e32 v118, v18, v118                              // 00000000A3E0: 0AECED12
	v_mul_f32_e32 v119, v18, v119                              // 00000000A3E4: 0AEEEF12
	v_mul_f32_e32 v120, v18, v120                              // 00000000A3E8: 0AF0F112
	v_mul_f32_e32 v121, v18, v121                              // 00000000A3EC: 0AF2F312
	v_mul_f32_e32 v122, v18, v122                              // 00000000A3F0: 0AF4F512
	v_mul_f32_e32 v123, v18, v123                              // 00000000A3F4: 0AF6F712
	v_mul_f32_e32 v124, v18, v124                              // 00000000A3F8: 0AF8F912
	v_mul_f32_e32 v125, v18, v125                              // 00000000A3FC: 0AFAFB12
	v_mul_f32_e32 v126, v18, v126                              // 00000000A400: 0AFCFD12
	v_mul_f32_e32 v127, v18, v127                              // 00000000A404: 0AFEFF12
	buffer_load_dwordx4 a[16:19], v24, s[16:19], 0 offen       // 00000000A408: E05C1000 80841018
	v_mul_f32_dpp v112, v248, v112 quad_perm:[0,0,0,0] row_mask:0xf bank_mask:0xf// 00000000A410: 0AE0E0FA FF0000F8
	v_mul_f32_dpp v113, v248, v113 quad_perm:[1,1,1,1] row_mask:0xf bank_mask:0xf// 00000000A418: 0AE2E2FA FF0055F8
	v_mul_f32_dpp v114, v248, v114 quad_perm:[2,2,2,2] row_mask:0xf bank_mask:0xf// 00000000A420: 0AE4E4FA FF00AAF8
	v_mul_f32_dpp v115, v248, v115 quad_perm:[3,3,3,3] row_mask:0xf bank_mask:0xf// 00000000A428: 0AE6E6FA FF00FFF8
	v_mul_f32_dpp v116, v249, v116 quad_perm:[0,0,0,0] row_mask:0xf bank_mask:0xf// 00000000A430: 0AE8E8FA FF0000F9
	v_mul_f32_dpp v117, v249, v117 quad_perm:[1,1,1,1] row_mask:0xf bank_mask:0xf// 00000000A438: 0AEAEAFA FF0055F9
	v_mul_f32_dpp v118, v249, v118 quad_perm:[2,2,2,2] row_mask:0xf bank_mask:0xf// 00000000A440: 0AECECFA FF00AAF9
	v_mul_f32_dpp v119, v249, v119 quad_perm:[3,3,3,3] row_mask:0xf bank_mask:0xf// 00000000A448: 0AEEEEFA FF00FFF9
	v_mul_f32_dpp v120, v250, v120 quad_perm:[0,0,0,0] row_mask:0xf bank_mask:0xf// 00000000A450: 0AF0F0FA FF0000FA
	v_mul_f32_dpp v121, v250, v121 quad_perm:[1,1,1,1] row_mask:0xf bank_mask:0xf// 00000000A458: 0AF2F2FA FF0055FA
	v_mul_f32_dpp v122, v250, v122 quad_perm:[2,2,2,2] row_mask:0xf bank_mask:0xf// 00000000A460: 0AF4F4FA FF00AAFA
	v_mul_f32_dpp v123, v250, v123 quad_perm:[3,3,3,3] row_mask:0xf bank_mask:0xf// 00000000A468: 0AF6F6FA FF00FFFA
	v_mul_f32_dpp v124, v251, v124 quad_perm:[0,0,0,0] row_mask:0xf bank_mask:0xf// 00000000A470: 0AF8F8FA FF0000FB
	v_mul_f32_dpp v125, v251, v125 quad_perm:[1,1,1,1] row_mask:0xf bank_mask:0xf// 00000000A478: 0AFAFAFA FF0055FB
	v_mul_f32_dpp v126, v251, v126 quad_perm:[2,2,2,2] row_mask:0xf bank_mask:0xf// 00000000A480: 0AFCFCFA FF00AAFB
	v_mul_f32_dpp v127, v251, v127 quad_perm:[3,3,3,3] row_mask:0xf bank_mask:0xf// 00000000A488: 0AFEFEFA FF00FFFB
	buffer_load_dwordx4 a[20:23], v24, s[16:19], 0 offen offset:1024// 00000000A490: E05C1400 80841418
	v_mov_b32_e32 v48, v112                                    // 00000000A498: 7E600370
	v_max3_f32 v48, v112, v113, v48                            // 00000000A49C: D1D30030 04C2E370
	v_max3_f32 v48, v114, v115, v48                            // 00000000A4A4: D1D30030 04C2E772
	v_max3_f32 v48, v116, v117, v48                            // 00000000A4AC: D1D30030 04C2EB74
	v_max3_f32 v48, v118, v119, v48                            // 00000000A4B4: D1D30030 04C2EF76
	v_max3_f32 v48, v120, v121, v48                            // 00000000A4BC: D1D30030 04C2F378
	v_max3_f32 v48, v122, v123, v48                            // 00000000A4C4: D1D30030 04C2F77A
	v_max3_f32 v48, v124, v125, v48                            // 00000000A4CC: D1D30030 04C2FB7C
	v_max3_f32 v48, v126, v127, v48                            // 00000000A4D4: D1D30030 04C2FF7E
	ds_write_b32 v8, v48 offset:16896                          // 00000000A4DC: D81A4200 00003008
	buffer_load_dwordx4 a[24:27], v25, s[16:19], 0 offen       // 00000000A4E4: E05C1000 80841819
	v_mul_u32_u24_dpp v64, v16, v54 row_newbcast:1 row_mask:0xf bank_mask:0xf// 00000000A4EC: 10806CFA FF015110
	v_mul_u32_u24_dpp v65, v16, v54 row_newbcast:5 row_mask:0xf bank_mask:0xf// 00000000A4F4: 10826CFA FF015510
	v_mul_u32_u24_dpp v66, v16, v54 row_newbcast:9 row_mask:0xf bank_mask:0xf// 00000000A4FC: 10846CFA FF015910
	v_mul_u32_u24_dpp v67, v16, v54 row_newbcast:13 row_mask:0xf bank_mask:0xf// 00000000A504: 10866CFA FF015D10
	v_add_u32_e32 v30, v64, v6                                 // 00000000A50C: 683C0D40
	v_add_u32_e32 v31, v65, v6                                 // 00000000A510: 683E0D41
	v_add_u32_e32 v32, v66, v6                                 // 00000000A514: 68400D42
	v_add_u32_e32 v33, v67, v6                                 // 00000000A518: 68420D43
	v_mul_f32_e32 v208, v49, v208                              // 00000000A51C: 0BA1A131
	v_mul_f32_e32 v209, v49, v209                              // 00000000A520: 0BA3A331
	v_mul_f32_e32 v210, v49, v210                              // 00000000A524: 0BA5A531
	v_mul_f32_e32 v211, v49, v211                              // 00000000A528: 0BA7A731
	v_mul_f32_e32 v212, v49, v212                              // 00000000A52C: 0BA9A931
	v_mul_f32_e32 v213, v49, v213                              // 00000000A530: 0BABAB31
	v_mul_f32_e32 v214, v49, v214                              // 00000000A534: 0BADAD31
	v_mul_f32_e32 v215, v49, v215                              // 00000000A538: 0BAFAF31
	s_waitcnt lgkmcnt(0)                                       // 00000000A53C: BF8CC07F
	s_barrier                                                  // 00000000A540: BF8A0000
	ds_read_b32 v64, v7 offset:16896                           // 00000000A544: D86C4200 40000007
	ds_read_b32 v65, v7 offset:16960                           // 00000000A54C: D86C4240 41000007
	ds_read_b32 v66, v7 offset:17024                           // 00000000A554: D86C4280 42000007
	ds_read_b32 v67, v7 offset:17088                           // 00000000A55C: D86C42C0 43000007
	ds_read_b32 v68, v7 offset:17152                           // 00000000A564: D86C4300 44000007
	ds_read_b32 v69, v7 offset:17216                           // 00000000A56C: D86C4340 45000007
	ds_read_b32 v70, v7 offset:17280                           // 00000000A574: D86C4380 46000007
	ds_read_b32 v71, v7 offset:17344                           // 00000000A57C: D86C43C0 47000007
	ds_read_b32 v72, v7 offset:17408                           // 00000000A584: D86C4400 48000007
	ds_read_b32 v73, v7 offset:17472                           // 00000000A58C: D86C4440 49000007
	ds_read_b32 v74, v7 offset:17536                           // 00000000A594: D86C4480 4A000007
	ds_read_b32 v75, v7 offset:17600                           // 00000000A59C: D86C44C0 4B000007
	ds_read_b32 v76, v7 offset:17664                           // 00000000A5A4: D86C4500 4C000007
	ds_read_b32 v77, v7 offset:17728                           // 00000000A5AC: D86C4540 4D000007
	ds_read_b32 v78, v7 offset:17792                           // 00000000A5B4: D86C4580 4E000007
	ds_read_b32 v79, v7 offset:17856                           // 00000000A5BC: D86C45C0 4F000007
	buffer_load_dwordx4 a[28:31], v25, s[16:19], 0 offen offset:1024// 00000000A5C4: E05C1400 80841C19
	v_mul_f32_e32 v176, v44, v176                              // 00000000A5CC: 0B61612C
	v_mul_f32_e32 v177, v44, v177                              // 00000000A5D0: 0B63632C
	v_mul_f32_e32 v178, v44, v178                              // 00000000A5D4: 0B65652C
	v_mul_f32_e32 v179, v44, v179                              // 00000000A5D8: 0B67672C
	v_mul_f32_e32 v180, v44, v180                              // 00000000A5DC: 0B69692C
	v_mul_f32_e32 v181, v44, v181                              // 00000000A5E0: 0B6B6B2C
	v_mul_f32_e32 v182, v44, v182                              // 00000000A5E4: 0B6D6D2C
	v_mul_f32_e32 v183, v44, v183                              // 00000000A5E8: 0B6F6F2C
	s_waitcnt lgkmcnt(0)                                       // 00000000A5EC: BF8CC07F
	v_max3_f32 v48, v64, v65, v48                              // 00000000A5F0: D1D30030 04C28340
	v_max3_f32 v48, v66, v67, v48                              // 00000000A5F8: D1D30030 04C28742
	v_max3_f32 v48, v68, v69, v48                              // 00000000A600: D1D30030 04C28B44
	v_max3_f32 v48, v70, v71, v48                              // 00000000A608: D1D30030 04C28F46
	v_max3_f32 v48, v72, v73, v48                              // 00000000A610: D1D30030 04C29348
	v_max3_f32 v48, v74, v75, v48                              // 00000000A618: D1D30030 04C2974A
	v_max3_f32 v48, v76, v77, v48                              // 00000000A620: D1D30030 04C29B4C
	v_max3_f32 v48, v78, v79, v48                              // 00000000A628: D1D30030 04C29F4E
	buffer_load_dwordx4 a[64:67], v30, s[20:23], 0 offen       // 00000000A630: E05C1000 8085401E
	v_mov_b32_e32 v64, 0xff800000                              // 00000000A638: 7E8002FF FF800000
	v_cmp_eq_u32_e64 s[40:41], v64, v11                        // 00000000A640: D0CA0028 00021740
	s_nop 1                                                    // 00000000A648: BF800001
	v_max_f32_e32 v15, v48, v11                                // 00000000A64C: 161E1730
	v_mul_f32_e32 v53, s64, v15                                // 00000000A650: 0A6A1E40
	v_fma_f32 v112, v112, s64, -v53                            // 00000000A654: D1CB0070 84D48170
	v_fma_f32 v113, v113, s64, -v53                            // 00000000A65C: D1CB0071 84D48171
	v_fma_f32 v114, v114, s64, -v53                            // 00000000A664: D1CB0072 84D48172
	v_fma_f32 v115, v115, s64, -v53                            // 00000000A66C: D1CB0073 84D48173
	v_fma_f32 v116, v116, s64, -v53                            // 00000000A674: D1CB0074 84D48174
	v_fma_f32 v117, v117, s64, -v53                            // 00000000A67C: D1CB0075 84D48175
	v_fma_f32 v118, v118, s64, -v53                            // 00000000A684: D1CB0076 84D48176
	v_fma_f32 v119, v119, s64, -v53                            // 00000000A68C: D1CB0077 84D48177
	v_fma_f32 v120, v120, s64, -v53                            // 00000000A694: D1CB0078 84D48178
	v_fma_f32 v121, v121, s64, -v53                            // 00000000A69C: D1CB0079 84D48179
	v_fma_f32 v122, v122, s64, -v53                            // 00000000A6A4: D1CB007A 84D4817A
	v_fma_f32 v123, v123, s64, -v53                            // 00000000A6AC: D1CB007B 84D4817B
	v_fma_f32 v124, v124, s64, -v53                            // 00000000A6B4: D1CB007C 84D4817C
	v_fma_f32 v125, v125, s64, -v53                            // 00000000A6BC: D1CB007D 84D4817D
	v_fma_f32 v126, v126, s64, -v53                            // 00000000A6C4: D1CB007E 84D4817E
	v_fma_f32 v127, v127, s64, -v53                            // 00000000A6CC: D1CB007F 84D4817F
	buffer_load_dwordx4 a[68:71], v31, s[20:23], 0 offen       // 00000000A6D4: E05C1000 8085441F
	v_exp_f32_e32 v112, v112                                   // 00000000A6DC: 7EE04170
	v_exp_f32_e32 v113, v113                                   // 00000000A6E0: 7EE24171
	v_exp_f32_e32 v114, v114                                   // 00000000A6E4: 7EE44172
	v_exp_f32_e32 v115, v115                                   // 00000000A6E8: 7EE64173
	v_exp_f32_e32 v116, v116                                   // 00000000A6EC: 7EE84174
	v_exp_f32_e32 v117, v117                                   // 00000000A6F0: 7EEA4175
	v_exp_f32_e32 v118, v118                                   // 00000000A6F4: 7EEC4176
	v_exp_f32_e32 v119, v119                                   // 00000000A6F8: 7EEE4177
	v_exp_f32_e32 v120, v120                                   // 00000000A6FC: 7EF04178
	v_exp_f32_e32 v121, v121                                   // 00000000A700: 7EF24179
	v_exp_f32_e32 v122, v122                                   // 00000000A704: 7EF4417A
	v_exp_f32_e32 v123, v123                                   // 00000000A708: 7EF6417B
	v_exp_f32_e32 v124, v124                                   // 00000000A70C: 7EF8417C
	v_exp_f32_e32 v125, v125                                   // 00000000A710: 7EFA417D
	v_exp_f32_e32 v126, v126                                   // 00000000A714: 7EFC417E
	v_exp_f32_e32 v127, v127                                   // 00000000A718: 7EFE417F
	buffer_load_dwordx4 a[72:75], v32, s[20:23], 0 offen       // 00000000A71C: E05C1000 80854820
	v_mul_f32_dpp v240, v252, v112 quad_perm:[0,0,0,0] row_mask:0xf bank_mask:0xf// 00000000A724: 0BE0E0FA FF0000FC
	v_mul_f32_dpp v241, v252, v113 quad_perm:[1,1,1,1] row_mask:0xf bank_mask:0xf// 00000000A72C: 0BE2E2FA FF0055FC
	v_mul_f32_dpp v242, v252, v114 quad_perm:[2,2,2,2] row_mask:0xf bank_mask:0xf// 00000000A734: 0BE4E4FA FF00AAFC
	v_mul_f32_dpp v243, v252, v115 quad_perm:[3,3,3,3] row_mask:0xf bank_mask:0xf// 00000000A73C: 0BE6E6FA FF00FFFC
	v_mul_f32_dpp v244, v253, v116 quad_perm:[0,0,0,0] row_mask:0xf bank_mask:0xf// 00000000A744: 0BE8E8FA FF0000FD
	v_mul_f32_dpp v245, v253, v117 quad_perm:[1,1,1,1] row_mask:0xf bank_mask:0xf// 00000000A74C: 0BEAEAFA FF0055FD
	v_mul_f32_dpp v246, v253, v118 quad_perm:[2,2,2,2] row_mask:0xf bank_mask:0xf// 00000000A754: 0BECECFA FF00AAFD
	v_mul_f32_dpp v247, v253, v119 quad_perm:[3,3,3,3] row_mask:0xf bank_mask:0xf// 00000000A75C: 0BEEEEFA FF00FFFD
	v_mul_f32_dpp v248, v254, v120 quad_perm:[0,0,0,0] row_mask:0xf bank_mask:0xf// 00000000A764: 0BF0F0FA FF0000FE
	v_mul_f32_dpp v249, v254, v121 quad_perm:[1,1,1,1] row_mask:0xf bank_mask:0xf// 00000000A76C: 0BF2F2FA FF0055FE
	v_mul_f32_dpp v250, v254, v122 quad_perm:[2,2,2,2] row_mask:0xf bank_mask:0xf// 00000000A774: 0BF4F4FA FF00AAFE
	v_mul_f32_dpp v251, v254, v123 quad_perm:[3,3,3,3] row_mask:0xf bank_mask:0xf// 00000000A77C: 0BF6F6FA FF00FFFE
	v_mul_f32_dpp v252, v255, v124 quad_perm:[0,0,0,0] row_mask:0xf bank_mask:0xf// 00000000A784: 0BF8F8FA FF0000FF
	v_mul_f32_dpp v253, v255, v125 quad_perm:[1,1,1,1] row_mask:0xf bank_mask:0xf// 00000000A78C: 0BFAFAFA FF0055FF
	v_mul_f32_dpp v254, v255, v126 quad_perm:[2,2,2,2] row_mask:0xf bank_mask:0xf// 00000000A794: 0BFCFCFA FF00AAFF
	v_mul_f32_dpp v255, v255, v127 quad_perm:[3,3,3,3] row_mask:0xf bank_mask:0xf// 00000000A79C: 0BFEFEFA FF00FFFF
	v_mov_b32_e32 v48, 0x358637bd                              // 00000000A7A4: 7E6002FF 358637BD
	v_max3_f32 v48, |v240|, |v241|, v48                        // 00000000A7AC: D1D30330 04C3E3F0
	v_max3_f32 v48, |v242|, |v243|, v48                        // 00000000A7B4: D1D30330 04C3E7F2
	v_max3_f32 v48, |v244|, |v245|, v48                        // 00000000A7BC: D1D30330 04C3EBF4
	v_max3_f32 v48, |v246|, |v247|, v48                        // 00000000A7C4: D1D30330 04C3EFF6
	v_max3_f32 v48, |v248|, |v249|, v48                        // 00000000A7CC: D1D30330 04C3F3F8
	v_max3_f32 v48, |v250|, |v251|, v48                        // 00000000A7D4: D1D30330 04C3F7FA
	v_max3_f32 v48, |v252|, |v253|, v48                        // 00000000A7DC: D1D30330 04C3FBFC
	v_max3_f32 v48, |v254|, |v255|, v48                        // 00000000A7E4: D1D30330 04C3FFFE
	buffer_load_dwordx4 a[76:79], v33, s[20:23], 0 offen       // 00000000A7EC: E05C1000 80854C21
	ds_write_b32 v8, v48 offset:20992                          // 00000000A7F4: D81A5200 00003008
	v_sub_f32_e32 v49, v11, v15                                // 00000000A7FC: 04621F0B
	v_cndmask_b32_e64 v49, v49, 0, s[40:41]                    // 00000000A800: D1000031 00A10131
	v_mov_b32_e32 v11, v15                                     // 00000000A808: 7E16030F
	v_mul_f32_e32 v49, s64, v49                                // 00000000A80C: 0A626240
	v_exp_f32_e32 v49, v49                                     // 00000000A810: 7E624131
	s_waitcnt lgkmcnt(0)                                       // 00000000A814: BF8CC07F
	s_barrier                                                  // 00000000A818: BF8A0000
	ds_read_b32 v64, v7 offset:20992                           // 00000000A81C: D86C5200 40000007
	ds_read_b32 v65, v7 offset:21056                           // 00000000A824: D86C5240 41000007
	ds_read_b32 v66, v7 offset:21120                           // 00000000A82C: D86C5280 42000007
	ds_read_b32 v67, v7 offset:21184                           // 00000000A834: D86C52C0 43000007
	ds_read_b32 v68, v7 offset:21248                           // 00000000A83C: D86C5300 44000007
	ds_read_b32 v69, v7 offset:21312                           // 00000000A844: D86C5340 45000007
	ds_read_b32 v70, v7 offset:21376                           // 00000000A84C: D86C5380 46000007
	ds_read_b32 v71, v7 offset:21440                           // 00000000A854: D86C53C0 47000007
	ds_read_b32 v72, v7 offset:21504                           // 00000000A85C: D86C5400 48000007
	ds_read_b32 v73, v7 offset:21568                           // 00000000A864: D86C5440 49000007
	ds_read_b32 v74, v7 offset:21632                           // 00000000A86C: D86C5480 4A000007
	ds_read_b32 v75, v7 offset:21696                           // 00000000A874: D86C54C0 4B000007
	ds_read_b32 v76, v7 offset:21760                           // 00000000A87C: D86C5500 4C000007
	ds_read_b32 v77, v7 offset:21824                           // 00000000A884: D86C5540 4D000007
	ds_read_b32 v78, v7 offset:21888                           // 00000000A88C: D86C5580 4E000007
	ds_read_b32 v79, v7 offset:21952                           // 00000000A894: D86C55C0 4F000007
	v_mul_f32_e32 v38, v49, v38                                // 00000000A89C: 0A4C4D31
	v_mov_b32_e32 v15, v112                                    // 00000000A8A0: 7E1E0370
	v_add_f32_e32 v15, v113, v15                               // 00000000A8A4: 021E1F71
	v_add_f32_e32 v15, v114, v15                               // 00000000A8A8: 021E1F72
	v_add_f32_e32 v15, v115, v15                               // 00000000A8AC: 021E1F73
	v_add_f32_e32 v15, v116, v15                               // 00000000A8B0: 021E1F74
	v_add_f32_e32 v15, v117, v15                               // 00000000A8B4: 021E1F75
	v_add_f32_e32 v15, v118, v15                               // 00000000A8B8: 021E1F76
	v_add_f32_e32 v15, v119, v15                               // 00000000A8BC: 021E1F77
	v_add_f32_e32 v15, v120, v15                               // 00000000A8C0: 021E1F78
	v_add_f32_e32 v15, v121, v15                               // 00000000A8C4: 021E1F79
	v_add_f32_e32 v15, v122, v15                               // 00000000A8C8: 021E1F7A
	v_add_f32_e32 v15, v123, v15                               // 00000000A8CC: 021E1F7B
	v_add_f32_e32 v15, v124, v15                               // 00000000A8D0: 021E1F7C
	v_add_f32_e32 v15, v125, v15                               // 00000000A8D4: 021E1F7D
	v_add_f32_e32 v15, v126, v15                               // 00000000A8D8: 021E1F7E
	v_add_f32_e32 v15, v127, v15                               // 00000000A8DC: 021E1F7F
	v_add_f32_e32 v38, v15, v38                                // 00000000A8E0: 024C4D0F
	s_waitcnt lgkmcnt(0)                                       // 00000000A8E4: BF8CC07F
	v_max3_f32 v48, |v64|, |v65|, v48                          // 00000000A8E8: D1D30330 04C28340
	v_max3_f32 v48, |v66|, |v67|, v48                          // 00000000A8F0: D1D30330 04C28742
	v_max3_f32 v48, |v68|, |v69|, v48                          // 00000000A8F8: D1D30330 04C28B44
	v_max3_f32 v48, |v70|, |v71|, v48                          // 00000000A900: D1D30330 04C28F46
	v_max3_f32 v48, |v72|, |v73|, v48                          // 00000000A908: D1D30330 04C29348
	v_max3_f32 v48, |v74|, |v75|, v48                          // 00000000A910: D1D30330 04C2974A
	v_max3_f32 v48, |v76|, |v77|, v48                          // 00000000A918: D1D30330 04C29B4C
	v_max3_f32 v48, |v78|, |v79|, v48                          // 00000000A920: D1D30330 04C29F4E
	s_nop 2                                                    // 00000000A928: BF800002
	v_rcp_f32_e32 v48, v48                                     // 00000000A92C: 7E604530
	s_nop 1                                                    // 00000000A930: BF800001
	v_mul_f32_e32 v48, 0x43e00000, v48                         // 00000000A934: 0A6060FF 43E00000
	v_mul_f32_e32 v112, v48, v240                              // 00000000A93C: 0AE1E130
	v_mul_f32_e32 v113, v48, v241                              // 00000000A940: 0AE3E330
	v_mul_f32_e32 v114, v48, v242                              // 00000000A944: 0AE5E530
	v_mul_f32_e32 v115, v48, v243                              // 00000000A948: 0AE7E730
	v_mul_f32_e32 v116, v48, v244                              // 00000000A94C: 0AE9E930
	v_mul_f32_e32 v117, v48, v245                              // 00000000A950: 0AEBEB30
	v_mul_f32_e32 v118, v48, v246                              // 00000000A954: 0AEDED30
	v_mul_f32_e32 v119, v48, v247                              // 00000000A958: 0AEFEF30
	v_mul_f32_e32 v120, v48, v248                              // 00000000A95C: 0AF1F130
	v_mul_f32_e32 v121, v48, v249                              // 00000000A960: 0AF3F330
	v_mul_f32_e32 v122, v48, v250                              // 00000000A964: 0AF5F530
	v_mul_f32_e32 v123, v48, v251                              // 00000000A968: 0AF7F730
	v_mul_f32_e32 v124, v48, v252                              // 00000000A96C: 0AF9F930
	v_mul_f32_e32 v125, v48, v253                              // 00000000A970: 0AFBFB30
	v_mul_f32_e32 v126, v48, v254                              // 00000000A974: 0AFDFD30
	v_mul_f32_e32 v127, v48, v255                              // 00000000A978: 0AFFFF30
	v_cvt_pk_fp8_f32 v112, v112, v113                          // 00000000A97C: D2A20070 0002E370
	v_cvt_pk_fp8_f32 v112, v114, v115 op_sel:[0,0,1]           // 00000000A984: D2A24070 0002E772
	v_cvt_pk_fp8_f32 v113, v116, v117                          // 00000000A98C: D2A20071 0002EB74
	v_cvt_pk_fp8_f32 v113, v118, v119 op_sel:[0,0,1]           // 00000000A994: D2A24071 0002EF76
	v_cvt_pk_fp8_f32 v114, v120, v121                          // 00000000A99C: D2A20072 0002F378
	v_cvt_pk_fp8_f32 v114, v122, v123 op_sel:[0,0,1]           // 00000000A9A4: D2A24072 0002F77A
	v_cvt_pk_fp8_f32 v115, v124, v125                          // 00000000A9AC: D2A20073 0002FB7C
	v_cvt_pk_fp8_f32 v115, v126, v127 op_sel:[0,0,1]           // 00000000A9B4: D2A24073 0002FF7E
	ds_write_b32 v10, v112 offset:25088                        // 00000000A9BC: D81A6200 0000700A
	ds_write_b32 v10, v113 offset:26112                        // 00000000A9C4: D81A6600 0000710A
	ds_write_b32 v10, v114 offset:27136                        // 00000000A9CC: D81A6A00 0000720A
	ds_write_b32 v10, v115 offset:28160                        // 00000000A9D4: D81A6E00 0000730A
	v_add_f32_e32 v208, v208, v176                             // 00000000A9DC: 03A161D0
	v_add_f32_e32 v209, v209, v177                             // 00000000A9E0: 03A363D1
	v_add_f32_e32 v210, v210, v178                             // 00000000A9E4: 03A565D2
	v_add_f32_e32 v211, v211, v179                             // 00000000A9E8: 03A767D3
	v_add_f32_e32 v212, v212, v180                             // 00000000A9EC: 03A969D4
	v_add_f32_e32 v213, v213, v181                             // 00000000A9F0: 03AB6BD5
	v_add_f32_e32 v214, v214, v182                             // 00000000A9F4: 03AD6DD6
	v_add_f32_e32 v215, v215, v183                             // 00000000A9F8: 03AF6FD7
	v_rcp_f32_e32 v44, v48                                     // 00000000A9FC: 7E584530
	s_waitcnt lgkmcnt(0)                                       // 00000000AA00: BF8CC07F
	s_barrier                                                  // 00000000AA04: BF8A0000
	ds_read_b64 v[112:113], v9 offset:25088                    // 00000000AA08: D8EC6200 70000009
	ds_read_b64 v[114:115], v9 offset:25216                    // 00000000AA10: D8EC6280 72000009
	ds_read_b64 v[116:117], v9 offset:26112                    // 00000000AA18: D8EC6600 74000009
	ds_read_b64 v[118:119], v9 offset:26240                    // 00000000AA20: D8EC6680 76000009
	ds_read_b64 v[120:121], v9 offset:27136                    // 00000000AA28: D8EC6A00 78000009
	ds_read_b64 v[122:123], v9 offset:27264                    // 00000000AA30: D8EC6A80 7A000009
	ds_read_b64 v[124:125], v9 offset:28160                    // 00000000AA38: D8EC6E00 7C000009
	ds_read_b64 v[126:127], v9 offset:28288                    // 00000000AA40: D8EC6E80 7E000009
	v_mov_b32_dpp v64, v43 row_shr:4 row_mask:0xf bank_mask:0xf// 00000000AA48: 7E8002FA FF01142B
	v_mov_b32_dpp v65, v43 row_shl:4 row_mask:0xf bank_mask:0xf// 00000000AA50: 7E8202FA FF01042B
	v_cndmask_b32_e64 v248, v43, v64, s[44:45]                 // 00000000AA58: D10000F8 00B2812B
	v_cndmask_b32_e64 v249, v65, v43, s[44:45]                 // 00000000AA60: D10000F9 00B25741
	v_mov_b32_dpp v64, v248 row_shr:8 row_mask:0xf bank_mask:0xf// 00000000AA68: 7E8002FA FF0118F8
	v_mov_b32_dpp v65, v248 row_shl:8 row_mask:0xf bank_mask:0xf// 00000000AA70: 7E8202FA FF0108F8
	v_mov_b32_dpp v66, v249 row_shr:8 row_mask:0xf bank_mask:0xf// 00000000AA78: 7E8402FA FF0118F9
	v_mov_b32_dpp v67, v249 row_shl:8 row_mask:0xf bank_mask:0xf// 00000000AA80: 7E8602FA FF0108F9
	v_mov_b32_e32 v68, v248                                    // 00000000AA88: 7E8803F8
	v_mov_b32_e32 v69, v249                                    // 00000000AA8C: 7E8A03F9
	v_cndmask_b32_e64 v248, v68, v64, s[42:43]                 // 00000000AA90: D10000F8 00AA8144
	v_cndmask_b32_e64 v250, v68, v65, s[78:79]                 // 00000000AA98: D10000FA 013A8344
	v_cndmask_b32_e64 v249, v69, v66, s[42:43]                 // 00000000AAA0: D10000F9 00AA8545
	v_cndmask_b32_e64 v251, v69, v67, s[78:79]                 // 00000000AAA8: D10000FB 013A8745
	v_mov_b32_dpp v64, v58 row_shr:4 row_mask:0xf bank_mask:0xf// 00000000AAB0: 7E8002FA FF01143A
	v_mov_b32_dpp v65, v58 row_shl:4 row_mask:0xf bank_mask:0xf// 00000000AAB8: 7E8202FA FF01043A
	v_cndmask_b32_e64 v252, v58, v64, s[44:45]                 // 00000000AAC0: D10000FC 00B2813A
	v_cndmask_b32_e64 v253, v65, v58, s[44:45]                 // 00000000AAC8: D10000FD 00B27541
	v_mov_b32_dpp v64, v252 row_shr:8 row_mask:0xf bank_mask:0xf// 00000000AAD0: 7E8002FA FF0118FC
	v_mov_b32_dpp v65, v252 row_shl:8 row_mask:0xf bank_mask:0xf// 00000000AAD8: 7E8202FA FF0108FC
	v_mov_b32_dpp v66, v253 row_shr:8 row_mask:0xf bank_mask:0xf// 00000000AAE0: 7E8402FA FF0118FD
	v_mov_b32_dpp v67, v253 row_shl:8 row_mask:0xf bank_mask:0xf// 00000000AAE8: 7E8602FA FF0108FD
	v_mov_b32_e32 v68, v252                                    // 00000000AAF0: 7E8803FC
	v_mov_b32_e32 v69, v253                                    // 00000000AAF4: 7E8A03FD
	v_cndmask_b32_e64 v252, v68, v64, s[42:43]                 // 00000000AAF8: D10000FC 00AA8144
	v_cndmask_b32_e64 v254, v68, v65, s[78:79]                 // 00000000AB00: D10000FE 013A8344
	v_cndmask_b32_e64 v253, v69, v66, s[42:43]                 // 00000000AB08: D10000FD 00AA8545
	v_cndmask_b32_e64 v255, v69, v67, s[78:79]                 // 00000000AB10: D10000FF 013A8745
	v_mul_f32_e32 v128, v19, v128                              // 00000000AB18: 0B010113
	v_mul_f32_e32 v129, v19, v129                              // 00000000AB1C: 0B030313
	v_mul_f32_e32 v130, v19, v130                              // 00000000AB20: 0B050513
	v_mul_f32_e32 v131, v19, v131                              // 00000000AB24: 0B070713
	v_mul_f32_e32 v132, v19, v132                              // 00000000AB28: 0B090913
	v_mul_f32_e32 v133, v19, v133                              // 00000000AB2C: 0B0B0B13
	v_mul_f32_e32 v134, v19, v134                              // 00000000AB30: 0B0D0D13
	v_mul_f32_e32 v135, v19, v135                              // 00000000AB34: 0B0F0F13
	v_mul_f32_e32 v136, v19, v136                              // 00000000AB38: 0B111113
	v_mul_f32_e32 v137, v19, v137                              // 00000000AB3C: 0B131313
	v_mul_f32_e32 v138, v19, v138                              // 00000000AB40: 0B151513
	v_mul_f32_e32 v139, v19, v139                              // 00000000AB44: 0B171713
	v_mul_f32_e32 v140, v19, v140                              // 00000000AB48: 0B191913
	v_mul_f32_e32 v141, v19, v141                              // 00000000AB4C: 0B1B1B13
	v_mul_f32_e32 v142, v19, v142                              // 00000000AB50: 0B1D1D13
	v_mul_f32_e32 v143, v19, v143                              // 00000000AB54: 0B1F1F13
	v_mul_f32_dpp v128, v248, v128 quad_perm:[0,0,0,0] row_mask:0xf bank_mask:0xf// 00000000AB58: 0B0100FA FF0000F8
	v_mul_f32_dpp v129, v248, v129 quad_perm:[1,1,1,1] row_mask:0xf bank_mask:0xf// 00000000AB60: 0B0302FA FF0055F8
	v_mul_f32_dpp v130, v248, v130 quad_perm:[2,2,2,2] row_mask:0xf bank_mask:0xf// 00000000AB68: 0B0504FA FF00AAF8
	v_mul_f32_dpp v131, v248, v131 quad_perm:[3,3,3,3] row_mask:0xf bank_mask:0xf// 00000000AB70: 0B0706FA FF00FFF8
	v_mul_f32_dpp v132, v249, v132 quad_perm:[0,0,0,0] row_mask:0xf bank_mask:0xf// 00000000AB78: 0B0908FA FF0000F9
	v_mul_f32_dpp v133, v249, v133 quad_perm:[1,1,1,1] row_mask:0xf bank_mask:0xf// 00000000AB80: 0B0B0AFA FF0055F9
	v_mul_f32_dpp v134, v249, v134 quad_perm:[2,2,2,2] row_mask:0xf bank_mask:0xf// 00000000AB88: 0B0D0CFA FF00AAF9
	v_mul_f32_dpp v135, v249, v135 quad_perm:[3,3,3,3] row_mask:0xf bank_mask:0xf// 00000000AB90: 0B0F0EFA FF00FFF9
	v_mul_f32_dpp v136, v250, v136 quad_perm:[0,0,0,0] row_mask:0xf bank_mask:0xf// 00000000AB98: 0B1110FA FF0000FA
	v_mul_f32_dpp v137, v250, v137 quad_perm:[1,1,1,1] row_mask:0xf bank_mask:0xf// 00000000ABA0: 0B1312FA FF0055FA
	v_mul_f32_dpp v138, v250, v138 quad_perm:[2,2,2,2] row_mask:0xf bank_mask:0xf// 00000000ABA8: 0B1514FA FF00AAFA
	v_mul_f32_dpp v139, v250, v139 quad_perm:[3,3,3,3] row_mask:0xf bank_mask:0xf// 00000000ABB0: 0B1716FA FF00FFFA
	v_mul_f32_dpp v140, v251, v140 quad_perm:[0,0,0,0] row_mask:0xf bank_mask:0xf// 00000000ABB8: 0B1918FA FF0000FB
	v_mul_f32_dpp v141, v251, v141 quad_perm:[1,1,1,1] row_mask:0xf bank_mask:0xf// 00000000ABC0: 0B1B1AFA FF0055FB
	v_mul_f32_dpp v142, v251, v142 quad_perm:[2,2,2,2] row_mask:0xf bank_mask:0xf// 00000000ABC8: 0B1D1CFA FF00AAFB
	v_mul_f32_dpp v143, v251, v143 quad_perm:[3,3,3,3] row_mask:0xf bank_mask:0xf// 00000000ABD0: 0B1F1EFA FF00FFFB
	v_mov_b32_e32 v48, v128                                    // 00000000ABD8: 7E600380
	v_max3_f32 v48, v128, v129, v48                            // 00000000ABDC: D1D30030 04C30380
	v_max3_f32 v48, v130, v131, v48                            // 00000000ABE4: D1D30030 04C30782
	v_max3_f32 v48, v132, v133, v48                            // 00000000ABEC: D1D30030 04C30B84
	v_max3_f32 v48, v134, v135, v48                            // 00000000ABF4: D1D30030 04C30F86
	v_max3_f32 v48, v136, v137, v48                            // 00000000ABFC: D1D30030 04C31388
	v_max3_f32 v48, v138, v139, v48                            // 00000000AC04: D1D30030 04C3178A
	v_max3_f32 v48, v140, v141, v48                            // 00000000AC0C: D1D30030 04C31B8C
	v_max3_f32 v48, v142, v143, v48                            // 00000000AC14: D1D30030 04C31F8E
	ds_write_b32 v8, v48 offset:16896                          // 00000000AC1C: D81A4200 00003008
	v_mul_f32_e32 v216, v50, v216                              // 00000000AC24: 0BB1B132
	v_mul_f32_e32 v217, v50, v217                              // 00000000AC28: 0BB3B332
	v_mul_f32_e32 v218, v50, v218                              // 00000000AC2C: 0BB5B532
	v_mul_f32_e32 v219, v50, v219                              // 00000000AC30: 0BB7B732
	v_mul_f32_e32 v220, v50, v220                              // 00000000AC34: 0BB9B932
	v_mul_f32_e32 v221, v50, v221                              // 00000000AC38: 0BBBBB32
	v_mul_f32_e32 v222, v50, v222                              // 00000000AC3C: 0BBDBD32
	v_mul_f32_e32 v223, v50, v223                              // 00000000AC40: 0BBFBF32
	s_waitcnt lgkmcnt(0)                                       // 00000000AC44: BF8CC07F
	s_barrier                                                  // 00000000AC48: BF8A0000
	ds_read_b32 v64, v7 offset:16896                           // 00000000AC4C: D86C4200 40000007
	ds_read_b32 v65, v7 offset:16960                           // 00000000AC54: D86C4240 41000007
	ds_read_b32 v66, v7 offset:17024                           // 00000000AC5C: D86C4280 42000007
	ds_read_b32 v67, v7 offset:17088                           // 00000000AC64: D86C42C0 43000007
	ds_read_b32 v68, v7 offset:17152                           // 00000000AC6C: D86C4300 44000007
	ds_read_b32 v69, v7 offset:17216                           // 00000000AC74: D86C4340 45000007
	ds_read_b32 v70, v7 offset:17280                           // 00000000AC7C: D86C4380 46000007
	ds_read_b32 v71, v7 offset:17344                           // 00000000AC84: D86C43C0 47000007
	ds_read_b32 v72, v7 offset:17408                           // 00000000AC8C: D86C4400 48000007
	ds_read_b32 v73, v7 offset:17472                           // 00000000AC94: D86C4440 49000007
	ds_read_b32 v74, v7 offset:17536                           // 00000000AC9C: D86C4480 4A000007
	ds_read_b32 v75, v7 offset:17600                           // 00000000ACA4: D86C44C0 4B000007
	ds_read_b32 v76, v7 offset:17664                           // 00000000ACAC: D86C4500 4C000007
	ds_read_b32 v77, v7 offset:17728                           // 00000000ACB4: D86C4540 4D000007
	ds_read_b32 v78, v7 offset:17792                           // 00000000ACBC: D86C4580 4E000007
	ds_read_b32 v79, v7 offset:17856                           // 00000000ACC4: D86C45C0 4F000007
	v_mul_f32_e32 v184, v45, v184                              // 00000000ACCC: 0B71712D
	v_mul_f32_e32 v185, v45, v185                              // 00000000ACD0: 0B73732D
	v_mul_f32_e32 v186, v45, v186                              // 00000000ACD4: 0B75752D
	v_mul_f32_e32 v187, v45, v187                              // 00000000ACD8: 0B77772D
	v_mul_f32_e32 v188, v45, v188                              // 00000000ACDC: 0B79792D
	v_mul_f32_e32 v189, v45, v189                              // 00000000ACE0: 0B7B7B2D
	v_mul_f32_e32 v190, v45, v190                              // 00000000ACE4: 0B7D7D2D
	v_mul_f32_e32 v191, v45, v191                              // 00000000ACE8: 0B7F7F2D
	s_waitcnt lgkmcnt(0)                                       // 00000000ACEC: BF8CC07F
	v_max3_f32 v48, v64, v65, v48                              // 00000000ACF0: D1D30030 04C28340
	v_max3_f32 v48, v66, v67, v48                              // 00000000ACF8: D1D30030 04C28742
	v_max3_f32 v48, v68, v69, v48                              // 00000000AD00: D1D30030 04C28B44
	v_max3_f32 v48, v70, v71, v48                              // 00000000AD08: D1D30030 04C28F46
	v_max3_f32 v48, v72, v73, v48                              // 00000000AD10: D1D30030 04C29348
	v_max3_f32 v48, v74, v75, v48                              // 00000000AD18: D1D30030 04C2974A
	v_max3_f32 v48, v76, v77, v48                              // 00000000AD20: D1D30030 04C29B4C
	v_max3_f32 v48, v78, v79, v48                              // 00000000AD28: D1D30030 04C29F4E
	v_mov_b32_e32 v64, 0xff800000                              // 00000000AD30: 7E8002FF FF800000
	v_cmp_eq_u32_e64 s[40:41], v64, v12                        // 00000000AD38: D0CA0028 00021940
	s_nop 1                                                    // 00000000AD40: BF800001
	v_max_f32_e32 v15, v48, v12                                // 00000000AD44: 161E1930
	v_mul_f32_e32 v53, s64, v15                                // 00000000AD48: 0A6A1E40
	v_fma_f32 v128, v128, s64, -v53                            // 00000000AD4C: D1CB0080 84D48180
	v_fma_f32 v129, v129, s64, -v53                            // 00000000AD54: D1CB0081 84D48181
	v_fma_f32 v130, v130, s64, -v53                            // 00000000AD5C: D1CB0082 84D48182
	v_fma_f32 v131, v131, s64, -v53                            // 00000000AD64: D1CB0083 84D48183
	v_fma_f32 v132, v132, s64, -v53                            // 00000000AD6C: D1CB0084 84D48184
	v_fma_f32 v133, v133, s64, -v53                            // 00000000AD74: D1CB0085 84D48185
	v_fma_f32 v134, v134, s64, -v53                            // 00000000AD7C: D1CB0086 84D48186
	v_fma_f32 v135, v135, s64, -v53                            // 00000000AD84: D1CB0087 84D48187
	v_fma_f32 v136, v136, s64, -v53                            // 00000000AD8C: D1CB0088 84D48188
	v_fma_f32 v137, v137, s64, -v53                            // 00000000AD94: D1CB0089 84D48189
	v_fma_f32 v138, v138, s64, -v53                            // 00000000AD9C: D1CB008A 84D4818A
	v_fma_f32 v139, v139, s64, -v53                            // 00000000ADA4: D1CB008B 84D4818B
	v_fma_f32 v140, v140, s64, -v53                            // 00000000ADAC: D1CB008C 84D4818C
	v_fma_f32 v141, v141, s64, -v53                            // 00000000ADB4: D1CB008D 84D4818D
	v_fma_f32 v142, v142, s64, -v53                            // 00000000ADBC: D1CB008E 84D4818E
	v_fma_f32 v143, v143, s64, -v53                            // 00000000ADC4: D1CB008F 84D4818F
	v_exp_f32_e32 v128, v128                                   // 00000000ADCC: 7F004180
	v_exp_f32_e32 v129, v129                                   // 00000000ADD0: 7F024181
	v_exp_f32_e32 v130, v130                                   // 00000000ADD4: 7F044182
	v_exp_f32_e32 v131, v131                                   // 00000000ADD8: 7F064183
	v_exp_f32_e32 v132, v132                                   // 00000000ADDC: 7F084184
	v_exp_f32_e32 v133, v133                                   // 00000000ADE0: 7F0A4185
	v_exp_f32_e32 v134, v134                                   // 00000000ADE4: 7F0C4186
	v_exp_f32_e32 v135, v135                                   // 00000000ADE8: 7F0E4187
	v_exp_f32_e32 v136, v136                                   // 00000000ADEC: 7F104188
	v_exp_f32_e32 v137, v137                                   // 00000000ADF0: 7F124189
	v_exp_f32_e32 v138, v138                                   // 00000000ADF4: 7F14418A
	v_exp_f32_e32 v139, v139                                   // 00000000ADF8: 7F16418B
	v_exp_f32_e32 v140, v140                                   // 00000000ADFC: 7F18418C
	v_exp_f32_e32 v141, v141                                   // 00000000AE00: 7F1A418D
	v_exp_f32_e32 v142, v142                                   // 00000000AE04: 7F1C418E
	v_exp_f32_e32 v143, v143                                   // 00000000AE08: 7F1E418F
	v_mul_f32_dpp v240, v252, v128 quad_perm:[0,0,0,0] row_mask:0xf bank_mask:0xf// 00000000AE0C: 0BE100FA FF0000FC
	v_mul_f32_dpp v241, v252, v129 quad_perm:[1,1,1,1] row_mask:0xf bank_mask:0xf// 00000000AE14: 0BE302FA FF0055FC
	v_mul_f32_dpp v242, v252, v130 quad_perm:[2,2,2,2] row_mask:0xf bank_mask:0xf// 00000000AE1C: 0BE504FA FF00AAFC
	v_mul_f32_dpp v243, v252, v131 quad_perm:[3,3,3,3] row_mask:0xf bank_mask:0xf// 00000000AE24: 0BE706FA FF00FFFC
	v_mul_f32_dpp v244, v253, v132 quad_perm:[0,0,0,0] row_mask:0xf bank_mask:0xf// 00000000AE2C: 0BE908FA FF0000FD
	v_mul_f32_dpp v245, v253, v133 quad_perm:[1,1,1,1] row_mask:0xf bank_mask:0xf// 00000000AE34: 0BEB0AFA FF0055FD
	v_mul_f32_dpp v246, v253, v134 quad_perm:[2,2,2,2] row_mask:0xf bank_mask:0xf// 00000000AE3C: 0BED0CFA FF00AAFD
	v_mul_f32_dpp v247, v253, v135 quad_perm:[3,3,3,3] row_mask:0xf bank_mask:0xf// 00000000AE44: 0BEF0EFA FF00FFFD
	v_mul_f32_dpp v248, v254, v136 quad_perm:[0,0,0,0] row_mask:0xf bank_mask:0xf// 00000000AE4C: 0BF110FA FF0000FE
	v_mul_f32_dpp v249, v254, v137 quad_perm:[1,1,1,1] row_mask:0xf bank_mask:0xf// 00000000AE54: 0BF312FA FF0055FE
	v_mul_f32_dpp v250, v254, v138 quad_perm:[2,2,2,2] row_mask:0xf bank_mask:0xf// 00000000AE5C: 0BF514FA FF00AAFE
	v_mul_f32_dpp v251, v254, v139 quad_perm:[3,3,3,3] row_mask:0xf bank_mask:0xf// 00000000AE64: 0BF716FA FF00FFFE
	v_mul_f32_dpp v252, v255, v140 quad_perm:[0,0,0,0] row_mask:0xf bank_mask:0xf// 00000000AE6C: 0BF918FA FF0000FF
	v_mul_f32_dpp v253, v255, v141 quad_perm:[1,1,1,1] row_mask:0xf bank_mask:0xf// 00000000AE74: 0BFB1AFA FF0055FF
	v_mul_f32_dpp v254, v255, v142 quad_perm:[2,2,2,2] row_mask:0xf bank_mask:0xf// 00000000AE7C: 0BFD1CFA FF00AAFF
	v_mul_f32_dpp v255, v255, v143 quad_perm:[3,3,3,3] row_mask:0xf bank_mask:0xf// 00000000AE84: 0BFF1EFA FF00FFFF
	v_mov_b32_e32 v48, 0x358637bd                              // 00000000AE8C: 7E6002FF 358637BD
	v_max3_f32 v48, |v240|, |v241|, v48                        // 00000000AE94: D1D30330 04C3E3F0
	v_max3_f32 v48, |v242|, |v243|, v48                        // 00000000AE9C: D1D30330 04C3E7F2
	v_max3_f32 v48, |v244|, |v245|, v48                        // 00000000AEA4: D1D30330 04C3EBF4
	v_max3_f32 v48, |v246|, |v247|, v48                        // 00000000AEAC: D1D30330 04C3EFF6
	v_max3_f32 v48, |v248|, |v249|, v48                        // 00000000AEB4: D1D30330 04C3F3F8
	v_max3_f32 v48, |v250|, |v251|, v48                        // 00000000AEBC: D1D30330 04C3F7FA
	v_max3_f32 v48, |v252|, |v253|, v48                        // 00000000AEC4: D1D30330 04C3FBFC
	v_max3_f32 v48, |v254|, |v255|, v48                        // 00000000AECC: D1D30330 04C3FFFE
	ds_write_b32 v8, v48 offset:20992                          // 00000000AED4: D81A5200 00003008
	v_sub_f32_e32 v50, v12, v15                                // 00000000AEDC: 04641F0C
	v_cndmask_b32_e64 v50, v50, 0, s[40:41]                    // 00000000AEE0: D1000032 00A10132
	v_mov_b32_e32 v12, v15                                     // 00000000AEE8: 7E18030F
	v_mul_f32_e32 v50, s64, v50                                // 00000000AEEC: 0A646440
	v_exp_f32_e32 v50, v50                                     // 00000000AEF0: 7E644132
	s_waitcnt lgkmcnt(0)                                       // 00000000AEF4: BF8CC07F
	s_barrier                                                  // 00000000AEF8: BF8A0000
	ds_read_b32 v64, v7 offset:20992                           // 00000000AEFC: D86C5200 40000007
	ds_read_b32 v65, v7 offset:21056                           // 00000000AF04: D86C5240 41000007
	ds_read_b32 v66, v7 offset:21120                           // 00000000AF0C: D86C5280 42000007
	ds_read_b32 v67, v7 offset:21184                           // 00000000AF14: D86C52C0 43000007
	ds_read_b32 v68, v7 offset:21248                           // 00000000AF1C: D86C5300 44000007
	ds_read_b32 v69, v7 offset:21312                           // 00000000AF24: D86C5340 45000007
	ds_read_b32 v70, v7 offset:21376                           // 00000000AF2C: D86C5380 46000007
	ds_read_b32 v71, v7 offset:21440                           // 00000000AF34: D86C53C0 47000007
	ds_read_b32 v72, v7 offset:21504                           // 00000000AF3C: D86C5400 48000007
	ds_read_b32 v73, v7 offset:21568                           // 00000000AF44: D86C5440 49000007
	ds_read_b32 v74, v7 offset:21632                           // 00000000AF4C: D86C5480 4A000007
	ds_read_b32 v75, v7 offset:21696                           // 00000000AF54: D86C54C0 4B000007
	ds_read_b32 v76, v7 offset:21760                           // 00000000AF5C: D86C5500 4C000007
	ds_read_b32 v77, v7 offset:21824                           // 00000000AF64: D86C5540 4D000007
	ds_read_b32 v78, v7 offset:21888                           // 00000000AF6C: D86C5580 4E000007
	ds_read_b32 v79, v7 offset:21952                           // 00000000AF74: D86C55C0 4F000007
	v_mul_f32_e32 v39, v50, v39                                // 00000000AF7C: 0A4E4F32
	v_mov_b32_e32 v15, v128                                    // 00000000AF80: 7E1E0380
	v_add_f32_e32 v15, v129, v15                               // 00000000AF84: 021E1F81
	v_add_f32_e32 v15, v130, v15                               // 00000000AF88: 021E1F82
	v_add_f32_e32 v15, v131, v15                               // 00000000AF8C: 021E1F83
	v_add_f32_e32 v15, v132, v15                               // 00000000AF90: 021E1F84
	v_add_f32_e32 v15, v133, v15                               // 00000000AF94: 021E1F85
	v_add_f32_e32 v15, v134, v15                               // 00000000AF98: 021E1F86
	v_add_f32_e32 v15, v135, v15                               // 00000000AF9C: 021E1F87
	v_add_f32_e32 v15, v136, v15                               // 00000000AFA0: 021E1F88
	v_add_f32_e32 v15, v137, v15                               // 00000000AFA4: 021E1F89
	v_add_f32_e32 v15, v138, v15                               // 00000000AFA8: 021E1F8A
	v_add_f32_e32 v15, v139, v15                               // 00000000AFAC: 021E1F8B
	v_add_f32_e32 v15, v140, v15                               // 00000000AFB0: 021E1F8C
	v_add_f32_e32 v15, v141, v15                               // 00000000AFB4: 021E1F8D
	v_add_f32_e32 v15, v142, v15                               // 00000000AFB8: 021E1F8E
	v_add_f32_e32 v15, v143, v15                               // 00000000AFBC: 021E1F8F
	v_add_f32_e32 v39, v15, v39                                // 00000000AFC0: 024E4F0F
	s_waitcnt lgkmcnt(0)                                       // 00000000AFC4: BF8CC07F
	v_max3_f32 v48, |v64|, |v65|, v48                          // 00000000AFC8: D1D30330 04C28340
	v_max3_f32 v48, |v66|, |v67|, v48                          // 00000000AFD0: D1D30330 04C28742
	v_max3_f32 v48, |v68|, |v69|, v48                          // 00000000AFD8: D1D30330 04C28B44
	v_max3_f32 v48, |v70|, |v71|, v48                          // 00000000AFE0: D1D30330 04C28F46
	v_max3_f32 v48, |v72|, |v73|, v48                          // 00000000AFE8: D1D30330 04C29348
	v_max3_f32 v48, |v74|, |v75|, v48                          // 00000000AFF0: D1D30330 04C2974A
	v_max3_f32 v48, |v76|, |v77|, v48                          // 00000000AFF8: D1D30330 04C29B4C
	v_max3_f32 v48, |v78|, |v79|, v48                          // 00000000B000: D1D30330 04C29F4E
	s_nop 2                                                    // 00000000B008: BF800002
	v_rcp_f32_e32 v48, v48                                     // 00000000B00C: 7E604530
	s_nop 1                                                    // 00000000B010: BF800001
	v_mul_f32_e32 v48, 0x43e00000, v48                         // 00000000B014: 0A6060FF 43E00000
	v_mul_f32_e32 v128, v48, v240                              // 00000000B01C: 0B01E130
	v_mul_f32_e32 v129, v48, v241                              // 00000000B020: 0B03E330
	v_mul_f32_e32 v130, v48, v242                              // 00000000B024: 0B05E530
	v_mul_f32_e32 v131, v48, v243                              // 00000000B028: 0B07E730
	v_mul_f32_e32 v132, v48, v244                              // 00000000B02C: 0B09E930
	v_mul_f32_e32 v133, v48, v245                              // 00000000B030: 0B0BEB30
	v_mul_f32_e32 v134, v48, v246                              // 00000000B034: 0B0DED30
	v_mul_f32_e32 v135, v48, v247                              // 00000000B038: 0B0FEF30
	v_mul_f32_e32 v136, v48, v248                              // 00000000B03C: 0B11F130
	v_mul_f32_e32 v137, v48, v249                              // 00000000B040: 0B13F330
	v_mul_f32_e32 v138, v48, v250                              // 00000000B044: 0B15F530
	v_mul_f32_e32 v139, v48, v251                              // 00000000B048: 0B17F730
	v_mul_f32_e32 v140, v48, v252                              // 00000000B04C: 0B19F930
	v_mul_f32_e32 v141, v48, v253                              // 00000000B050: 0B1BFB30
	v_mul_f32_e32 v142, v48, v254                              // 00000000B054: 0B1DFD30
	v_mul_f32_e32 v143, v48, v255                              // 00000000B058: 0B1FFF30
	v_cvt_pk_fp8_f32 v128, v128, v129                          // 00000000B05C: D2A20080 00030380
	v_cvt_pk_fp8_f32 v128, v130, v131 op_sel:[0,0,1]           // 00000000B064: D2A24080 00030782
	v_cvt_pk_fp8_f32 v129, v132, v133                          // 00000000B06C: D2A20081 00030B84
	v_cvt_pk_fp8_f32 v129, v134, v135 op_sel:[0,0,1]           // 00000000B074: D2A24081 00030F86
	v_cvt_pk_fp8_f32 v130, v136, v137                          // 00000000B07C: D2A20082 00031388
	v_cvt_pk_fp8_f32 v130, v138, v139 op_sel:[0,0,1]           // 00000000B084: D2A24082 0003178A
	v_cvt_pk_fp8_f32 v131, v140, v141                          // 00000000B08C: D2A20083 00031B8C
	v_cvt_pk_fp8_f32 v131, v142, v143 op_sel:[0,0,1]           // 00000000B094: D2A24083 00031F8E
	ds_write_b32 v10, v128 offset:29184                        // 00000000B09C: D81A7200 0000800A
	ds_write_b32 v10, v129 offset:30208                        // 00000000B0A4: D81A7600 0000810A
	ds_write_b32 v10, v130 offset:31232                        // 00000000B0AC: D81A7A00 0000820A
	ds_write_b32 v10, v131 offset:32256                        // 00000000B0B4: D81A7E00 0000830A
	v_add_f32_e32 v216, v216, v184                             // 00000000B0BC: 03B171D8
	v_add_f32_e32 v217, v217, v185                             // 00000000B0C0: 03B373D9
	v_add_f32_e32 v218, v218, v186                             // 00000000B0C4: 03B575DA
	v_add_f32_e32 v219, v219, v187                             // 00000000B0C8: 03B777DB
	v_add_f32_e32 v220, v220, v188                             // 00000000B0CC: 03B979DC
	v_add_f32_e32 v221, v221, v189                             // 00000000B0D0: 03BB7BDD
	v_add_f32_e32 v222, v222, v190                             // 00000000B0D4: 03BD7DDE
	v_add_f32_e32 v223, v223, v191                             // 00000000B0D8: 03BF7FDF
	v_rcp_f32_e32 v45, v48                                     // 00000000B0DC: 7E5A4530
	s_waitcnt lgkmcnt(0)                                       // 00000000B0E0: BF8CC07F
	s_barrier                                                  // 00000000B0E4: BF8A0000
	ds_read_b64 v[128:129], v9 offset:29184                    // 00000000B0E8: D8EC7200 80000009
	ds_read_b64 v[130:131], v9 offset:29312                    // 00000000B0F0: D8EC7280 82000009
	ds_read_b64 v[132:133], v9 offset:30208                    // 00000000B0F8: D8EC7600 84000009
	ds_read_b64 v[134:135], v9 offset:30336                    // 00000000B100: D8EC7680 86000009
	ds_read_b64 v[136:137], v9 offset:31232                    // 00000000B108: D8EC7A00 88000009
	ds_read_b64 v[138:139], v9 offset:31360                    // 00000000B110: D8EC7A80 8A000009
	ds_read_b64 v[140:141], v9 offset:32256                    // 00000000B118: D8EC7E00 8C000009
	ds_read_b64 v[142:143], v9 offset:32384                    // 00000000B120: D8EC7E80 8E000009
	s_waitcnt vmcnt(15)                                        // 00000000B128: BF8C0F7F
	v_mfma_f32_16x16x32_fp8_fp8 v[176:179], a[96:97], v[112:113], 0// 00000000B12C: D3F300B0 0A02E160
	buffer_load_dwordx4 a[80:83], v30, s[20:23], 0 offen offset:1024// 00000000B134: E05C1400 8085501E
	v_mfma_f32_16x16x32_fp8_fp8 v[176:179], a[98:99], v[114:115], v[176:179]// 00000000B13C: D3F300B0 0EC2E562
	v_mfma_f32_16x16x32_fp8_fp8 v[176:179], a[100:101], v[116:117], v[176:179]// 00000000B144: D3F300B0 0EC2E964
	v_mfma_f32_16x16x32_fp8_fp8 v[176:179], a[102:103], v[118:119], v[176:179]// 00000000B14C: D3F300B0 0EC2ED66
	v_mfma_f32_16x16x32_fp8_fp8 v[176:179], a[104:105], v[120:121], v[176:179]// 00000000B154: D3F300B0 0EC2F168
	buffer_load_dwordx4 a[84:87], v31, s[20:23], 0 offen offset:1024// 00000000B15C: E05C1400 8085541F
	v_mfma_f32_16x16x32_fp8_fp8 v[176:179], a[106:107], v[122:123], v[176:179]// 00000000B164: D3F300B0 0EC2F56A
	v_mfma_f32_16x16x32_fp8_fp8 v[176:179], a[108:109], v[124:125], v[176:179]// 00000000B16C: D3F300B0 0EC2F96C
	v_mfma_f32_16x16x32_fp8_fp8 v[176:179], a[110:111], v[126:127], v[176:179]// 00000000B174: D3F300B0 0EC2FD6E
	v_mfma_f32_16x16x32_fp8_fp8 v[180:183], a[112:113], v[112:113], 0// 00000000B17C: D3F300B4 0A02E170
	buffer_load_dwordx4 a[88:91], v32, s[20:23], 0 offen offset:1024// 00000000B184: E05C1400 80855820
	v_mfma_f32_16x16x32_fp8_fp8 v[180:183], a[114:115], v[114:115], v[180:183]// 00000000B18C: D3F300B4 0ED2E572
	v_mfma_f32_16x16x32_fp8_fp8 v[180:183], a[116:117], v[116:117], v[180:183]// 00000000B194: D3F300B4 0ED2E974
	v_mfma_f32_16x16x32_fp8_fp8 v[180:183], a[118:119], v[118:119], v[180:183]// 00000000B19C: D3F300B4 0ED2ED76
	v_mfma_f32_16x16x32_fp8_fp8 v[180:183], a[120:121], v[120:121], v[180:183]// 00000000B1A4: D3F300B4 0ED2F178
	buffer_load_dwordx4 a[92:95], v33, s[20:23], 0 offen offset:1024// 00000000B1AC: E05C1400 80855C21
	v_mfma_f32_16x16x32_fp8_fp8 v[180:183], a[122:123], v[122:123], v[180:183]// 00000000B1B4: D3F300B4 0ED2F57A
	v_mfma_f32_16x16x32_fp8_fp8 v[180:183], a[124:125], v[124:125], v[180:183]// 00000000B1BC: D3F300B4 0ED2F97C
	s_lshr_b32 s57, s70, 4                                     // 00000000B1C4: 8F398446
	s_add_u32 s57, 48, s57                                     // 00000000B1C8: 803939B0
	v_mfma_f32_16x16x32_fp8_fp8 v[180:183], a[126:127], v[126:127], v[180:183]// 00000000B1CC: D3F300B4 0ED2FD7E
	s_cmp_ge_u32 s57, s73                                      // 00000000B1D4: BF094939
	s_cselect_b32 s56, 0, s56                                  // 00000000B1D8: 85383880
	v_mfma_f32_16x16x32_fp8_fp8 v[184:187], a[96:97], v[128:129], 0// 00000000B1DC: D3F300B8 0A030160
	v_mfma_f32_16x16x32_fp8_fp8 v[184:187], a[98:99], v[130:131], v[184:187]// 00000000B1E4: D3F300B8 0EE30562
	v_mfma_f32_16x16x32_fp8_fp8 v[184:187], a[100:101], v[132:133], v[184:187]// 00000000B1EC: D3F300B8 0EE30964
	v_mfma_f32_16x16x32_fp8_fp8 v[184:187], a[102:103], v[134:135], v[184:187]// 00000000B1F4: D3F300B8 0EE30D66
	v_mfma_f32_16x16x32_fp8_fp8 v[184:187], a[104:105], v[136:137], v[184:187]// 00000000B1FC: D3F300B8 0EE31168
	v_mfma_f32_16x16x32_fp8_fp8 v[184:187], a[106:107], v[138:139], v[184:187]// 00000000B204: D3F300B8 0EE3156A
	v_mfma_f32_16x16x32_fp8_fp8 v[184:187], a[108:109], v[140:141], v[184:187]// 00000000B20C: D3F300B8 0EE3196C
	v_mfma_f32_16x16x32_fp8_fp8 v[184:187], a[110:111], v[142:143], v[184:187]// 00000000B214: D3F300B8 0EE31D6E
	v_mfma_f32_16x16x32_fp8_fp8 v[188:191], a[112:113], v[128:129], 0// 00000000B21C: D3F300BC 0A030170
	v_mfma_f32_16x16x32_fp8_fp8 v[188:191], a[114:115], v[130:131], v[188:191]// 00000000B224: D3F300BC 0EF30572
	v_mfma_f32_16x16x32_fp8_fp8 v[188:191], a[116:117], v[132:133], v[188:191]// 00000000B22C: D3F300BC 0EF30974
	v_mfma_f32_16x16x32_fp8_fp8 v[188:191], a[118:119], v[134:135], v[188:191]// 00000000B234: D3F300BC 0EF30D76
	v_mfma_f32_16x16x32_fp8_fp8 v[188:191], a[120:121], v[136:137], v[188:191]// 00000000B23C: D3F300BC 0EF31178
	v_mfma_f32_16x16x32_fp8_fp8 v[188:191], a[122:123], v[138:139], v[188:191]// 00000000B244: D3F300BC 0EF3157A
	v_mfma_f32_16x16x32_fp8_fp8 v[188:191], a[124:125], v[140:141], v[188:191]// 00000000B24C: D3F300BC 0EF3197C
	v_mfma_f32_16x16x32_fp8_fp8 v[188:191], a[126:127], v[142:143], v[188:191]// 00000000B254: D3F300BC 0EF31D7E
	v_add_u32_e32 v1, s56, v1                                  // 00000000B25C: 68020238
	s_addk_i32 s70, 0x100                                      // 00000000B260: B7460100
	s_cmp_lt_i32 s70, s71                                      // 00000000B264: BF044746
	s_cbranch_scc0 label_1B9C                                  // 00000000B268: BF84F781
	s_branch label_1B9F                                        // 00000000B26C: BF82F783

000000000000b270 <label_241C>:
	s_lshr_b32 s60, s71, 4                                     // 00000000B270: 8F3C8447
	s_cmp_eq_i32 s60, s73                                      // 00000000B274: BF00493C
	s_cbranch_scc1 label_2DD7                                  // 00000000B278: BF8509B8
	s_lshr_b32 s60, s71, 8                                     // 00000000B27C: 8F3C8847
	s_and_b32 s60, s60, 1                                      // 00000000B280: 863C813C
	s_cmp_eq_i32 s60, 1                                        // 00000000B284: BF00813C
	s_cbranch_scc1 label_28FD                                  // 00000000B288: BF8504DA
	s_waitcnt vmcnt(8) lgkmcnt(0)                              // 00000000B28C: BF8C0078
	s_barrier                                                  // 00000000B290: BF8A0000
	v_mfma_f32_16x16x32_fp8_fp8 v[112:115], a[0:1], v[80:81], 0// 00000000B294: D3F30070 0A02A100
	v_mfma_f32_16x16x32_fp8_fp8 v[112:115], a[2:3], v[82:83], v[112:115]// 00000000B29C: D3F30070 0DC2A502
	v_mfma_f32_16x16x32_fp8_fp8 v[112:115], a[4:5], v[84:85], v[112:115]// 00000000B2A4: D3F30070 0DC2A904
	v_mfma_f32_16x16x32_fp8_fp8 v[112:115], a[6:7], v[86:87], v[112:115]// 00000000B2AC: D3F30070 0DC2AD06
	v_mfma_f32_16x16x32_fp8_fp8 v[116:119], a[8:9], v[80:81], 0// 00000000B2B4: D3F30074 0A02A108
	v_mfma_f32_16x16x32_fp8_fp8 v[116:119], a[10:11], v[82:83], v[116:119]// 00000000B2BC: D3F30074 0DD2A50A
	v_mfma_f32_16x16x32_fp8_fp8 v[116:119], a[12:13], v[84:85], v[116:119]// 00000000B2C4: D3F30074 0DD2A90C
	v_mfma_f32_16x16x32_fp8_fp8 v[116:119], a[14:15], v[86:87], v[116:119]// 00000000B2CC: D3F30074 0DD2AD0E
	v_mfma_f32_16x16x32_fp8_fp8 v[120:123], a[16:17], v[80:81], 0// 00000000B2D4: D3F30078 0A02A110
	v_mfma_f32_16x16x32_fp8_fp8 v[120:123], a[18:19], v[82:83], v[120:123]// 00000000B2DC: D3F30078 0DE2A512
	v_mfma_f32_16x16x32_fp8_fp8 v[120:123], a[20:21], v[84:85], v[120:123]// 00000000B2E4: D3F30078 0DE2A914
	v_mfma_f32_16x16x32_fp8_fp8 v[120:123], a[22:23], v[86:87], v[120:123]// 00000000B2EC: D3F30078 0DE2AD16
	v_mfma_f32_16x16x32_fp8_fp8 v[124:127], a[24:25], v[80:81], 0// 00000000B2F4: D3F3007C 0A02A118
	v_mfma_f32_16x16x32_fp8_fp8 v[124:127], a[26:27], v[82:83], v[124:127]// 00000000B2FC: D3F3007C 0DF2A51A
	v_mfma_f32_16x16x32_fp8_fp8 v[124:127], a[28:29], v[84:85], v[124:127]// 00000000B304: D3F3007C 0DF2A91C
	v_mfma_f32_16x16x32_fp8_fp8 v[124:127], a[30:31], v[86:87], v[124:127]// 00000000B30C: D3F3007C 0DF2AD1E
	v_mfma_f32_16x16x32_fp8_fp8 v[128:131], a[0:1], v[88:89], 0// 00000000B314: D3F30080 0A02B100
	v_mfma_f32_16x16x32_fp8_fp8 v[128:131], a[2:3], v[90:91], v[128:131]// 00000000B31C: D3F30080 0E02B502
	v_mfma_f32_16x16x32_fp8_fp8 v[128:131], a[4:5], v[92:93], v[128:131]// 00000000B324: D3F30080 0E02B904
	v_mfma_f32_16x16x32_fp8_fp8 v[128:131], a[6:7], v[94:95], v[128:131]// 00000000B32C: D3F30080 0E02BD06
	v_mfma_f32_16x16x32_fp8_fp8 v[132:135], a[8:9], v[88:89], 0// 00000000B334: D3F30084 0A02B108
	v_mfma_f32_16x16x32_fp8_fp8 v[132:135], a[10:11], v[90:91], v[132:135]// 00000000B33C: D3F30084 0E12B50A
	v_mfma_f32_16x16x32_fp8_fp8 v[132:135], a[12:13], v[92:93], v[132:135]// 00000000B344: D3F30084 0E12B90C
	v_mfma_f32_16x16x32_fp8_fp8 v[132:135], a[14:15], v[94:95], v[132:135]// 00000000B34C: D3F30084 0E12BD0E
	v_mfma_f32_16x16x32_fp8_fp8 v[136:139], a[16:17], v[88:89], 0// 00000000B354: D3F30088 0A02B110
	v_mfma_f32_16x16x32_fp8_fp8 v[136:139], a[18:19], v[90:91], v[136:139]// 00000000B35C: D3F30088 0E22B512
	v_mfma_f32_16x16x32_fp8_fp8 v[136:139], a[20:21], v[92:93], v[136:139]// 00000000B364: D3F30088 0E22B914
	v_mfma_f32_16x16x32_fp8_fp8 v[136:139], a[22:23], v[94:95], v[136:139]// 00000000B36C: D3F30088 0E22BD16
	v_mfma_f32_16x16x32_fp8_fp8 v[140:143], a[24:25], v[88:89], 0// 00000000B374: D3F3008C 0A02B118
	v_mfma_f32_16x16x32_fp8_fp8 v[140:143], a[26:27], v[90:91], v[140:143]// 00000000B37C: D3F3008C 0E32B51A
	v_mfma_f32_16x16x32_fp8_fp8 v[140:143], a[28:29], v[92:93], v[140:143]// 00000000B384: D3F3008C 0E32B91C
	v_mfma_f32_16x16x32_fp8_fp8 v[140:143], a[30:31], v[94:95], v[140:143]// 00000000B38C: D3F3008C 0E32BD1E
	v_mov_b32_dpp v64, v42 row_shr:4 row_mask:0xf bank_mask:0xf// 00000000B394: 7E8002FA FF01142A
	v_mov_b32_dpp v65, v42 row_shl:4 row_mask:0xf bank_mask:0xf// 00000000B39C: 7E8202FA FF01042A
	v_cndmask_b32_e64 v248, v42, v64, s[44:45]                 // 00000000B3A4: D10000F8 00B2812A
	v_cndmask_b32_e64 v249, v65, v42, s[44:45]                 // 00000000B3AC: D10000F9 00B25541
	v_mov_b32_dpp v64, v248 row_shr:8 row_mask:0xf bank_mask:0xf// 00000000B3B4: 7E8002FA FF0118F8
	v_mov_b32_dpp v65, v248 row_shl:8 row_mask:0xf bank_mask:0xf// 00000000B3BC: 7E8202FA FF0108F8
	v_mov_b32_dpp v66, v249 row_shr:8 row_mask:0xf bank_mask:0xf// 00000000B3C4: 7E8402FA FF0118F9
	v_mov_b32_dpp v67, v249 row_shl:8 row_mask:0xf bank_mask:0xf// 00000000B3CC: 7E8602FA FF0108F9
	v_mov_b32_e32 v68, v248                                    // 00000000B3D4: 7E8803F8
	v_mov_b32_e32 v69, v249                                    // 00000000B3D8: 7E8A03F9
	v_cndmask_b32_e64 v248, v68, v64, s[42:43]                 // 00000000B3DC: D10000F8 00AA8144
	v_cndmask_b32_e64 v250, v68, v65, s[78:79]                 // 00000000B3E4: D10000FA 013A8344
	v_cndmask_b32_e64 v249, v69, v66, s[42:43]                 // 00000000B3EC: D10000F9 00AA8545
	v_cndmask_b32_e64 v251, v69, v67, s[78:79]                 // 00000000B3F4: D10000FB 013A8745
	v_mov_b32_dpp v64, v57 row_shr:4 row_mask:0xf bank_mask:0xf// 00000000B3FC: 7E8002FA FF011439
	v_mov_b32_dpp v65, v57 row_shl:4 row_mask:0xf bank_mask:0xf// 00000000B404: 7E8202FA FF010439
	v_cndmask_b32_e64 v252, v57, v64, s[44:45]                 // 00000000B40C: D10000FC 00B28139
	v_cndmask_b32_e64 v253, v65, v57, s[44:45]                 // 00000000B414: D10000FD 00B27341
	v_mov_b32_dpp v64, v252 row_shr:8 row_mask:0xf bank_mask:0xf// 00000000B41C: 7E8002FA FF0118FC
	v_mov_b32_dpp v65, v252 row_shl:8 row_mask:0xf bank_mask:0xf// 00000000B424: 7E8202FA FF0108FC
	v_mov_b32_dpp v66, v253 row_shr:8 row_mask:0xf bank_mask:0xf// 00000000B42C: 7E8402FA FF0118FD
	v_mov_b32_dpp v67, v253 row_shl:8 row_mask:0xf bank_mask:0xf// 00000000B434: 7E8602FA FF0108FD
	v_mov_b32_e32 v68, v252                                    // 00000000B43C: 7E8803FC
	v_mov_b32_e32 v69, v253                                    // 00000000B440: 7E8A03FD
	v_cndmask_b32_e64 v252, v68, v64, s[42:43]                 // 00000000B444: D10000FC 00AA8144
	v_cndmask_b32_e64 v254, v68, v65, s[78:79]                 // 00000000B44C: D10000FE 013A8344
	v_cndmask_b32_e64 v253, v69, v66, s[42:43]                 // 00000000B454: D10000FD 00AA8545
	v_cndmask_b32_e64 v255, v69, v67, s[78:79]                 // 00000000B45C: D10000FF 013A8745
	v_mul_f32_e32 v112, v18, v112                              // 00000000B464: 0AE0E112
	v_mul_f32_e32 v113, v18, v113                              // 00000000B468: 0AE2E312
	v_mul_f32_e32 v114, v18, v114                              // 00000000B46C: 0AE4E512
	v_mul_f32_e32 v115, v18, v115                              // 00000000B470: 0AE6E712
	v_mul_f32_e32 v116, v18, v116                              // 00000000B474: 0AE8E912
	v_mul_f32_e32 v117, v18, v117                              // 00000000B478: 0AEAEB12
	v_mul_f32_e32 v118, v18, v118                              // 00000000B47C: 0AECED12
	v_mul_f32_e32 v119, v18, v119                              // 00000000B480: 0AEEEF12
	v_mul_f32_e32 v120, v18, v120                              // 00000000B484: 0AF0F112
	v_mul_f32_e32 v121, v18, v121                              // 00000000B488: 0AF2F312
	v_mul_f32_e32 v122, v18, v122                              // 00000000B48C: 0AF4F512
	v_mul_f32_e32 v123, v18, v123                              // 00000000B490: 0AF6F712
	v_mul_f32_e32 v124, v18, v124                              // 00000000B494: 0AF8F912
	v_mul_f32_e32 v125, v18, v125                              // 00000000B498: 0AFAFB12
	v_mul_f32_e32 v126, v18, v126                              // 00000000B49C: 0AFCFD12
	v_mul_f32_e32 v127, v18, v127                              // 00000000B4A0: 0AFEFF12
	v_mul_f32_dpp v112, v248, v112 quad_perm:[0,0,0,0] row_mask:0xf bank_mask:0xf// 00000000B4A4: 0AE0E0FA FF0000F8
	v_mul_f32_dpp v113, v248, v113 quad_perm:[1,1,1,1] row_mask:0xf bank_mask:0xf// 00000000B4AC: 0AE2E2FA FF0055F8
	v_mul_f32_dpp v114, v248, v114 quad_perm:[2,2,2,2] row_mask:0xf bank_mask:0xf// 00000000B4B4: 0AE4E4FA FF00AAF8
	v_mul_f32_dpp v115, v248, v115 quad_perm:[3,3,3,3] row_mask:0xf bank_mask:0xf// 00000000B4BC: 0AE6E6FA FF00FFF8
	v_mul_f32_dpp v116, v249, v116 quad_perm:[0,0,0,0] row_mask:0xf bank_mask:0xf// 00000000B4C4: 0AE8E8FA FF0000F9
	v_mul_f32_dpp v117, v249, v117 quad_perm:[1,1,1,1] row_mask:0xf bank_mask:0xf// 00000000B4CC: 0AEAEAFA FF0055F9
	v_mul_f32_dpp v118, v249, v118 quad_perm:[2,2,2,2] row_mask:0xf bank_mask:0xf// 00000000B4D4: 0AECECFA FF00AAF9
	v_mul_f32_dpp v119, v249, v119 quad_perm:[3,3,3,3] row_mask:0xf bank_mask:0xf// 00000000B4DC: 0AEEEEFA FF00FFF9
	v_mul_f32_dpp v120, v250, v120 quad_perm:[0,0,0,0] row_mask:0xf bank_mask:0xf// 00000000B4E4: 0AF0F0FA FF0000FA
	v_mul_f32_dpp v121, v250, v121 quad_perm:[1,1,1,1] row_mask:0xf bank_mask:0xf// 00000000B4EC: 0AF2F2FA FF0055FA
	v_mul_f32_dpp v122, v250, v122 quad_perm:[2,2,2,2] row_mask:0xf bank_mask:0xf// 00000000B4F4: 0AF4F4FA FF00AAFA
	v_mul_f32_dpp v123, v250, v123 quad_perm:[3,3,3,3] row_mask:0xf bank_mask:0xf// 00000000B4FC: 0AF6F6FA FF00FFFA
	v_mul_f32_dpp v124, v251, v124 quad_perm:[0,0,0,0] row_mask:0xf bank_mask:0xf// 00000000B504: 0AF8F8FA FF0000FB
	v_mul_f32_dpp v125, v251, v125 quad_perm:[1,1,1,1] row_mask:0xf bank_mask:0xf// 00000000B50C: 0AFAFAFA FF0055FB
	v_mul_f32_dpp v126, v251, v126 quad_perm:[2,2,2,2] row_mask:0xf bank_mask:0xf// 00000000B514: 0AFCFCFA FF00AAFB
	v_mul_f32_dpp v127, v251, v127 quad_perm:[3,3,3,3] row_mask:0xf bank_mask:0xf// 00000000B51C: 0AFEFEFA FF00FFFB
	s_and_b32 s60, s72, 0xff                                   // 00000000B524: 863CFF48 000000FF
	v_mov_b32_e32 v65, s60                                     // 00000000B52C: 7E82023C
	v_lshrrev_b32_e32 v240, 4, v0                              // 00000000B530: 21E00084
	v_mul_i32_i24_e32 v240, 4, v240                            // 00000000B534: 0DE1E084
	s_mul_i32 s60, s7, 16                                      // 00000000B538: 923C9007
	v_add_u32_e32 v240, s60, v240                              // 00000000B53C: 69E1E03C
	v_add_u32_e32 v241, 1, v240                                // 00000000B540: 69E3E081
	v_add_u32_e32 v242, 2, v240                                // 00000000B544: 69E5E082
	v_add_u32_e32 v243, 3, v240                                // 00000000B548: 69E7E083
	v_mov_b32_e32 v64, 0xff800000                              // 00000000B54C: 7E8002FF FF800000
	v_cmp_lt_u32_e64 s[40:41], v240, v65                       // 00000000B554: D0C90028 000283F0
	v_add_u32_e32 v240, 64, v240                               // 00000000B55C: 69E1E0C0
	s_nop 0                                                    // 00000000B560: BF800000
	v_cndmask_b32_e64 v112, v64, v112, s[40:41]                // 00000000B564: D1000070 00A2E140
	v_cmp_lt_u32_e64 s[40:41], v241, v65                       // 00000000B56C: D0C90028 000283F1
	v_add_u32_e32 v241, 64, v241                               // 00000000B574: 69E3E2C0
	s_nop 0                                                    // 00000000B578: BF800000
	v_cndmask_b32_e64 v113, v64, v113, s[40:41]                // 00000000B57C: D1000071 00A2E340
	v_cmp_lt_u32_e64 s[40:41], v242, v65                       // 00000000B584: D0C90028 000283F2
	v_add_u32_e32 v242, 64, v242                               // 00000000B58C: 69E5E4C0
	s_nop 0                                                    // 00000000B590: BF800000
	v_cndmask_b32_e64 v114, v64, v114, s[40:41]                // 00000000B594: D1000072 00A2E540
	v_cmp_lt_u32_e64 s[40:41], v243, v65                       // 00000000B59C: D0C90028 000283F3
	v_add_u32_e32 v243, 64, v243                               // 00000000B5A4: 69E7E6C0
	s_nop 0                                                    // 00000000B5A8: BF800000
	v_cndmask_b32_e64 v115, v64, v115, s[40:41]                // 00000000B5AC: D1000073 00A2E740
	v_cmp_lt_u32_e64 s[40:41], v240, v65                       // 00000000B5B4: D0C90028 000283F0
	v_add_u32_e32 v240, 64, v240                               // 00000000B5BC: 69E1E0C0
	s_nop 0                                                    // 00000000B5C0: BF800000
	v_cndmask_b32_e64 v116, v64, v116, s[40:41]                // 00000000B5C4: D1000074 00A2E940
	v_cmp_lt_u32_e64 s[40:41], v241, v65                       // 00000000B5CC: D0C90028 000283F1
	v_add_u32_e32 v241, 64, v241                               // 00000000B5D4: 69E3E2C0
	s_nop 0                                                    // 00000000B5D8: BF800000
	v_cndmask_b32_e64 v117, v64, v117, s[40:41]                // 00000000B5DC: D1000075 00A2EB40
	v_cmp_lt_u32_e64 s[40:41], v242, v65                       // 00000000B5E4: D0C90028 000283F2
	v_add_u32_e32 v242, 64, v242                               // 00000000B5EC: 69E5E4C0
	s_nop 0                                                    // 00000000B5F0: BF800000
	v_cndmask_b32_e64 v118, v64, v118, s[40:41]                // 00000000B5F4: D1000076 00A2ED40
	v_cmp_lt_u32_e64 s[40:41], v243, v65                       // 00000000B5FC: D0C90028 000283F3
	v_add_u32_e32 v243, 64, v243                               // 00000000B604: 69E7E6C0
	s_nop 0                                                    // 00000000B608: BF800000
	v_cndmask_b32_e64 v119, v64, v119, s[40:41]                // 00000000B60C: D1000077 00A2EF40
	v_cmp_lt_u32_e64 s[40:41], v240, v65                       // 00000000B614: D0C90028 000283F0
	v_add_u32_e32 v240, 64, v240                               // 00000000B61C: 69E1E0C0
	s_nop 0                                                    // 00000000B620: BF800000
	v_cndmask_b32_e64 v120, v64, v120, s[40:41]                // 00000000B624: D1000078 00A2F140
	v_cmp_lt_u32_e64 s[40:41], v241, v65                       // 00000000B62C: D0C90028 000283F1
	v_add_u32_e32 v241, 64, v241                               // 00000000B634: 69E3E2C0
	s_nop 0                                                    // 00000000B638: BF800000
	v_cndmask_b32_e64 v121, v64, v121, s[40:41]                // 00000000B63C: D1000079 00A2F340
	v_cmp_lt_u32_e64 s[40:41], v242, v65                       // 00000000B644: D0C90028 000283F2
	v_add_u32_e32 v242, 64, v242                               // 00000000B64C: 69E5E4C0
	s_nop 0                                                    // 00000000B650: BF800000
	v_cndmask_b32_e64 v122, v64, v122, s[40:41]                // 00000000B654: D100007A 00A2F540
	v_cmp_lt_u32_e64 s[40:41], v243, v65                       // 00000000B65C: D0C90028 000283F3
	v_add_u32_e32 v243, 64, v243                               // 00000000B664: 69E7E6C0
	s_nop 0                                                    // 00000000B668: BF800000
	v_cndmask_b32_e64 v123, v64, v123, s[40:41]                // 00000000B66C: D100007B 00A2F740
	v_cmp_lt_u32_e64 s[40:41], v240, v65                       // 00000000B674: D0C90028 000283F0
	v_add_u32_e32 v240, 64, v240                               // 00000000B67C: 69E1E0C0
	s_nop 0                                                    // 00000000B680: BF800000
	v_cndmask_b32_e64 v124, v64, v124, s[40:41]                // 00000000B684: D100007C 00A2F940
	v_cmp_lt_u32_e64 s[40:41], v241, v65                       // 00000000B68C: D0C90028 000283F1
	v_add_u32_e32 v241, 64, v241                               // 00000000B694: 69E3E2C0
	s_nop 0                                                    // 00000000B698: BF800000
	v_cndmask_b32_e64 v125, v64, v125, s[40:41]                // 00000000B69C: D100007D 00A2FB40
	v_cmp_lt_u32_e64 s[40:41], v242, v65                       // 00000000B6A4: D0C90028 000283F2
	v_add_u32_e32 v242, 64, v242                               // 00000000B6AC: 69E5E4C0
	s_nop 0                                                    // 00000000B6B0: BF800000
	v_cndmask_b32_e64 v126, v64, v126, s[40:41]                // 00000000B6B4: D100007E 00A2FD40
	v_cmp_lt_u32_e64 s[40:41], v243, v65                       // 00000000B6BC: D0C90028 000283F3
	v_add_u32_e32 v243, 64, v243                               // 00000000B6C4: 69E7E6C0
	s_nop 0                                                    // 00000000B6C8: BF800000
	v_cndmask_b32_e64 v127, v64, v127, s[40:41]                // 00000000B6CC: D100007F 00A2FF40
	v_mov_b32_e32 v48, v112                                    // 00000000B6D4: 7E600370
	v_max3_f32 v48, v112, v113, v48                            // 00000000B6D8: D1D30030 04C2E370
	v_max3_f32 v48, v114, v115, v48                            // 00000000B6E0: D1D30030 04C2E772
	v_max3_f32 v48, v116, v117, v48                            // 00000000B6E8: D1D30030 04C2EB74
	v_max3_f32 v48, v118, v119, v48                            // 00000000B6F0: D1D30030 04C2EF76
	v_max3_f32 v48, v120, v121, v48                            // 00000000B6F8: D1D30030 04C2F378
	v_max3_f32 v48, v122, v123, v48                            // 00000000B700: D1D30030 04C2F77A
	v_max3_f32 v48, v124, v125, v48                            // 00000000B708: D1D30030 04C2FB7C
	v_max3_f32 v48, v126, v127, v48                            // 00000000B710: D1D30030 04C2FF7E
	ds_write_b32 v8, v48 offset:16896                          // 00000000B718: D81A4200 00003008
	v_mul_u32_u24_dpp v64, v17, v54 row_newbcast:1 row_mask:0xf bank_mask:0xf// 00000000B720: 10806CFA FF015111
	v_mul_u32_u24_dpp v65, v17, v54 row_newbcast:5 row_mask:0xf bank_mask:0xf// 00000000B728: 10826CFA FF015511
	v_mul_u32_u24_dpp v66, v17, v54 row_newbcast:9 row_mask:0xf bank_mask:0xf// 00000000B730: 10846CFA FF015911
	v_mul_u32_u24_dpp v67, v17, v54 row_newbcast:13 row_mask:0xf bank_mask:0xf// 00000000B738: 10866CFA FF015D11
	v_add_u32_e32 v34, v64, v6                                 // 00000000B740: 68440D40
	v_add_u32_e32 v35, v65, v6                                 // 00000000B744: 68460D41
	v_add_u32_e32 v36, v66, v6                                 // 00000000B748: 68480D42
	v_add_u32_e32 v37, v67, v6                                 // 00000000B74C: 684A0D43
	v_mul_f32_e32 v208, v49, v208                              // 00000000B750: 0BA1A131
	v_mul_f32_e32 v209, v49, v209                              // 00000000B754: 0BA3A331
	v_mul_f32_e32 v210, v49, v210                              // 00000000B758: 0BA5A531
	v_mul_f32_e32 v211, v49, v211                              // 00000000B75C: 0BA7A731
	v_mul_f32_e32 v212, v49, v212                              // 00000000B760: 0BA9A931
	v_mul_f32_e32 v213, v49, v213                              // 00000000B764: 0BABAB31
	v_mul_f32_e32 v214, v49, v214                              // 00000000B768: 0BADAD31
	v_mul_f32_e32 v215, v49, v215                              // 00000000B76C: 0BAFAF31
	s_waitcnt lgkmcnt(0)                                       // 00000000B770: BF8CC07F
	s_barrier                                                  // 00000000B774: BF8A0000
	ds_read_b32 v64, v7 offset:16896                           // 00000000B778: D86C4200 40000007
	ds_read_b32 v65, v7 offset:16960                           // 00000000B780: D86C4240 41000007
	ds_read_b32 v66, v7 offset:17024                           // 00000000B788: D86C4280 42000007
	ds_read_b32 v67, v7 offset:17088                           // 00000000B790: D86C42C0 43000007
	ds_read_b32 v68, v7 offset:17152                           // 00000000B798: D86C4300 44000007
	ds_read_b32 v69, v7 offset:17216                           // 00000000B7A0: D86C4340 45000007
	ds_read_b32 v70, v7 offset:17280                           // 00000000B7A8: D86C4380 46000007
	ds_read_b32 v71, v7 offset:17344                           // 00000000B7B0: D86C43C0 47000007
	ds_read_b32 v72, v7 offset:17408                           // 00000000B7B8: D86C4400 48000007
	ds_read_b32 v73, v7 offset:17472                           // 00000000B7C0: D86C4440 49000007
	ds_read_b32 v74, v7 offset:17536                           // 00000000B7C8: D86C4480 4A000007
	ds_read_b32 v75, v7 offset:17600                           // 00000000B7D0: D86C44C0 4B000007
	ds_read_b32 v76, v7 offset:17664                           // 00000000B7D8: D86C4500 4C000007
	ds_read_b32 v77, v7 offset:17728                           // 00000000B7E0: D86C4540 4D000007
	ds_read_b32 v78, v7 offset:17792                           // 00000000B7E8: D86C4580 4E000007
	ds_read_b32 v79, v7 offset:17856                           // 00000000B7F0: D86C45C0 4F000007
	v_mul_f32_e32 v176, v44, v176                              // 00000000B7F8: 0B61612C
	v_mul_f32_e32 v177, v44, v177                              // 00000000B7FC: 0B63632C
	v_mul_f32_e32 v178, v44, v178                              // 00000000B800: 0B65652C
	v_mul_f32_e32 v179, v44, v179                              // 00000000B804: 0B67672C
	v_mul_f32_e32 v180, v44, v180                              // 00000000B808: 0B69692C
	v_mul_f32_e32 v181, v44, v181                              // 00000000B80C: 0B6B6B2C
	v_mul_f32_e32 v182, v44, v182                              // 00000000B810: 0B6D6D2C
	v_mul_f32_e32 v183, v44, v183                              // 00000000B814: 0B6F6F2C
	s_waitcnt lgkmcnt(0)                                       // 00000000B818: BF8CC07F
	v_max3_f32 v48, v64, v65, v48                              // 00000000B81C: D1D30030 04C28340
	v_max3_f32 v48, v66, v67, v48                              // 00000000B824: D1D30030 04C28742
	v_max3_f32 v48, v68, v69, v48                              // 00000000B82C: D1D30030 04C28B44
	v_max3_f32 v48, v70, v71, v48                              // 00000000B834: D1D30030 04C28F46
	v_max3_f32 v48, v72, v73, v48                              // 00000000B83C: D1D30030 04C29348
	v_max3_f32 v48, v74, v75, v48                              // 00000000B844: D1D30030 04C2974A
	v_max3_f32 v48, v76, v77, v48                              // 00000000B84C: D1D30030 04C29B4C
	v_max3_f32 v48, v78, v79, v48                              // 00000000B854: D1D30030 04C29F4E
	v_mov_b32_e32 v64, 0xff800000                              // 00000000B85C: 7E8002FF FF800000
	v_cmp_eq_u32_e64 s[40:41], v64, v11                        // 00000000B864: D0CA0028 00021740
	s_nop 1                                                    // 00000000B86C: BF800001
	v_max_f32_e32 v15, v48, v11                                // 00000000B870: 161E1730
	v_mul_f32_e32 v53, s64, v15                                // 00000000B874: 0A6A1E40
	v_fma_f32 v112, v112, s64, -v53                            // 00000000B878: D1CB0070 84D48170
	v_fma_f32 v113, v113, s64, -v53                            // 00000000B880: D1CB0071 84D48171
	v_fma_f32 v114, v114, s64, -v53                            // 00000000B888: D1CB0072 84D48172
	v_fma_f32 v115, v115, s64, -v53                            // 00000000B890: D1CB0073 84D48173
	v_fma_f32 v116, v116, s64, -v53                            // 00000000B898: D1CB0074 84D48174
	v_fma_f32 v117, v117, s64, -v53                            // 00000000B8A0: D1CB0075 84D48175
	v_fma_f32 v118, v118, s64, -v53                            // 00000000B8A8: D1CB0076 84D48176
	v_fma_f32 v119, v119, s64, -v53                            // 00000000B8B0: D1CB0077 84D48177
	v_fma_f32 v120, v120, s64, -v53                            // 00000000B8B8: D1CB0078 84D48178
	v_fma_f32 v121, v121, s64, -v53                            // 00000000B8C0: D1CB0079 84D48179
	v_fma_f32 v122, v122, s64, -v53                            // 00000000B8C8: D1CB007A 84D4817A
	v_fma_f32 v123, v123, s64, -v53                            // 00000000B8D0: D1CB007B 84D4817B
	v_fma_f32 v124, v124, s64, -v53                            // 00000000B8D8: D1CB007C 84D4817C
	v_fma_f32 v125, v125, s64, -v53                            // 00000000B8E0: D1CB007D 84D4817D
	v_fma_f32 v126, v126, s64, -v53                            // 00000000B8E8: D1CB007E 84D4817E
	v_fma_f32 v127, v127, s64, -v53                            // 00000000B8F0: D1CB007F 84D4817F
	v_exp_f32_e32 v112, v112                                   // 00000000B8F8: 7EE04170
	v_exp_f32_e32 v113, v113                                   // 00000000B8FC: 7EE24171
	v_exp_f32_e32 v114, v114                                   // 00000000B900: 7EE44172
	v_exp_f32_e32 v115, v115                                   // 00000000B904: 7EE64173
	v_exp_f32_e32 v116, v116                                   // 00000000B908: 7EE84174
	v_exp_f32_e32 v117, v117                                   // 00000000B90C: 7EEA4175
	v_exp_f32_e32 v118, v118                                   // 00000000B910: 7EEC4176
	v_exp_f32_e32 v119, v119                                   // 00000000B914: 7EEE4177
	v_exp_f32_e32 v120, v120                                   // 00000000B918: 7EF04178
	v_exp_f32_e32 v121, v121                                   // 00000000B91C: 7EF24179
	v_exp_f32_e32 v122, v122                                   // 00000000B920: 7EF4417A
	v_exp_f32_e32 v123, v123                                   // 00000000B924: 7EF6417B
	v_exp_f32_e32 v124, v124                                   // 00000000B928: 7EF8417C
	v_exp_f32_e32 v125, v125                                   // 00000000B92C: 7EFA417D
	v_exp_f32_e32 v126, v126                                   // 00000000B930: 7EFC417E
	v_exp_f32_e32 v127, v127                                   // 00000000B934: 7EFE417F
	v_mul_f32_dpp v240, v252, v112 quad_perm:[0,0,0,0] row_mask:0xf bank_mask:0xf// 00000000B938: 0BE0E0FA FF0000FC
	v_mul_f32_dpp v241, v252, v113 quad_perm:[1,1,1,1] row_mask:0xf bank_mask:0xf// 00000000B940: 0BE2E2FA FF0055FC
	v_mul_f32_dpp v242, v252, v114 quad_perm:[2,2,2,2] row_mask:0xf bank_mask:0xf// 00000000B948: 0BE4E4FA FF00AAFC
	v_mul_f32_dpp v243, v252, v115 quad_perm:[3,3,3,3] row_mask:0xf bank_mask:0xf// 00000000B950: 0BE6E6FA FF00FFFC
	v_mul_f32_dpp v244, v253, v116 quad_perm:[0,0,0,0] row_mask:0xf bank_mask:0xf// 00000000B958: 0BE8E8FA FF0000FD
	v_mul_f32_dpp v245, v253, v117 quad_perm:[1,1,1,1] row_mask:0xf bank_mask:0xf// 00000000B960: 0BEAEAFA FF0055FD
	v_mul_f32_dpp v246, v253, v118 quad_perm:[2,2,2,2] row_mask:0xf bank_mask:0xf// 00000000B968: 0BECECFA FF00AAFD
	v_mul_f32_dpp v247, v253, v119 quad_perm:[3,3,3,3] row_mask:0xf bank_mask:0xf// 00000000B970: 0BEEEEFA FF00FFFD
	v_mul_f32_dpp v248, v254, v120 quad_perm:[0,0,0,0] row_mask:0xf bank_mask:0xf// 00000000B978: 0BF0F0FA FF0000FE
	v_mul_f32_dpp v249, v254, v121 quad_perm:[1,1,1,1] row_mask:0xf bank_mask:0xf// 00000000B980: 0BF2F2FA FF0055FE
	v_mul_f32_dpp v250, v254, v122 quad_perm:[2,2,2,2] row_mask:0xf bank_mask:0xf// 00000000B988: 0BF4F4FA FF00AAFE
	v_mul_f32_dpp v251, v254, v123 quad_perm:[3,3,3,3] row_mask:0xf bank_mask:0xf// 00000000B990: 0BF6F6FA FF00FFFE
	v_mul_f32_dpp v252, v255, v124 quad_perm:[0,0,0,0] row_mask:0xf bank_mask:0xf// 00000000B998: 0BF8F8FA FF0000FF
	v_mul_f32_dpp v253, v255, v125 quad_perm:[1,1,1,1] row_mask:0xf bank_mask:0xf// 00000000B9A0: 0BFAFAFA FF0055FF
	v_mul_f32_dpp v254, v255, v126 quad_perm:[2,2,2,2] row_mask:0xf bank_mask:0xf// 00000000B9A8: 0BFCFCFA FF00AAFF
	v_mul_f32_dpp v255, v255, v127 quad_perm:[3,3,3,3] row_mask:0xf bank_mask:0xf// 00000000B9B0: 0BFEFEFA FF00FFFF
	v_mov_b32_e32 v48, 0x358637bd                              // 00000000B9B8: 7E6002FF 358637BD
	v_max3_f32 v48, |v240|, |v241|, v48                        // 00000000B9C0: D1D30330 04C3E3F0
	v_max3_f32 v48, |v242|, |v243|, v48                        // 00000000B9C8: D1D30330 04C3E7F2
	v_max3_f32 v48, |v244|, |v245|, v48                        // 00000000B9D0: D1D30330 04C3EBF4
	v_max3_f32 v48, |v246|, |v247|, v48                        // 00000000B9D8: D1D30330 04C3EFF6
	v_max3_f32 v48, |v248|, |v249|, v48                        // 00000000B9E0: D1D30330 04C3F3F8
	v_max3_f32 v48, |v250|, |v251|, v48                        // 00000000B9E8: D1D30330 04C3F7FA
	v_max3_f32 v48, |v252|, |v253|, v48                        // 00000000B9F0: D1D30330 04C3FBFC
	v_max3_f32 v48, |v254|, |v255|, v48                        // 00000000B9F8: D1D30330 04C3FFFE
	ds_write_b32 v8, v48 offset:20992                          // 00000000BA00: D81A5200 00003008
	v_sub_f32_e32 v49, v11, v15                                // 00000000BA08: 04621F0B
	v_cndmask_b32_e64 v49, v49, 0, s[40:41]                    // 00000000BA0C: D1000031 00A10131
	v_mov_b32_e32 v11, v15                                     // 00000000BA14: 7E16030F
	v_mul_f32_e32 v49, s64, v49                                // 00000000BA18: 0A626240
	v_exp_f32_e32 v49, v49                                     // 00000000BA1C: 7E624131
	s_waitcnt lgkmcnt(0)                                       // 00000000BA20: BF8CC07F
	s_barrier                                                  // 00000000BA24: BF8A0000
	ds_read_b32 v64, v7 offset:20992                           // 00000000BA28: D86C5200 40000007
	ds_read_b32 v65, v7 offset:21056                           // 00000000BA30: D86C5240 41000007
	ds_read_b32 v66, v7 offset:21120                           // 00000000BA38: D86C5280 42000007
	ds_read_b32 v67, v7 offset:21184                           // 00000000BA40: D86C52C0 43000007
	ds_read_b32 v68, v7 offset:21248                           // 00000000BA48: D86C5300 44000007
	ds_read_b32 v69, v7 offset:21312                           // 00000000BA50: D86C5340 45000007
	ds_read_b32 v70, v7 offset:21376                           // 00000000BA58: D86C5380 46000007
	ds_read_b32 v71, v7 offset:21440                           // 00000000BA60: D86C53C0 47000007
	ds_read_b32 v72, v7 offset:21504                           // 00000000BA68: D86C5400 48000007
	ds_read_b32 v73, v7 offset:21568                           // 00000000BA70: D86C5440 49000007
	ds_read_b32 v74, v7 offset:21632                           // 00000000BA78: D86C5480 4A000007
	ds_read_b32 v75, v7 offset:21696                           // 00000000BA80: D86C54C0 4B000007
	ds_read_b32 v76, v7 offset:21760                           // 00000000BA88: D86C5500 4C000007
	ds_read_b32 v77, v7 offset:21824                           // 00000000BA90: D86C5540 4D000007
	ds_read_b32 v78, v7 offset:21888                           // 00000000BA98: D86C5580 4E000007
	ds_read_b32 v79, v7 offset:21952                           // 00000000BAA0: D86C55C0 4F000007
	v_mul_f32_e32 v38, v49, v38                                // 00000000BAA8: 0A4C4D31
	v_mov_b32_e32 v15, v112                                    // 00000000BAAC: 7E1E0370
	v_add_f32_e32 v15, v113, v15                               // 00000000BAB0: 021E1F71
	v_add_f32_e32 v15, v114, v15                               // 00000000BAB4: 021E1F72
	v_add_f32_e32 v15, v115, v15                               // 00000000BAB8: 021E1F73
	v_add_f32_e32 v15, v116, v15                               // 00000000BABC: 021E1F74
	v_add_f32_e32 v15, v117, v15                               // 00000000BAC0: 021E1F75
	v_add_f32_e32 v15, v118, v15                               // 00000000BAC4: 021E1F76
	v_add_f32_e32 v15, v119, v15                               // 00000000BAC8: 021E1F77
	v_add_f32_e32 v15, v120, v15                               // 00000000BACC: 021E1F78
	v_add_f32_e32 v15, v121, v15                               // 00000000BAD0: 021E1F79
	v_add_f32_e32 v15, v122, v15                               // 00000000BAD4: 021E1F7A
	v_add_f32_e32 v15, v123, v15                               // 00000000BAD8: 021E1F7B
	v_add_f32_e32 v15, v124, v15                               // 00000000BADC: 021E1F7C
	v_add_f32_e32 v15, v125, v15                               // 00000000BAE0: 021E1F7D
	v_add_f32_e32 v15, v126, v15                               // 00000000BAE4: 021E1F7E
	v_add_f32_e32 v15, v127, v15                               // 00000000BAE8: 021E1F7F
	v_add_f32_e32 v38, v15, v38                                // 00000000BAEC: 024C4D0F
	s_waitcnt lgkmcnt(0)                                       // 00000000BAF0: BF8CC07F
	v_max3_f32 v48, |v64|, |v65|, v48                          // 00000000BAF4: D1D30330 04C28340
	v_max3_f32 v48, |v66|, |v67|, v48                          // 00000000BAFC: D1D30330 04C28742
	v_max3_f32 v48, |v68|, |v69|, v48                          // 00000000BB04: D1D30330 04C28B44
	v_max3_f32 v48, |v70|, |v71|, v48                          // 00000000BB0C: D1D30330 04C28F46
	v_max3_f32 v48, |v72|, |v73|, v48                          // 00000000BB14: D1D30330 04C29348
	v_max3_f32 v48, |v74|, |v75|, v48                          // 00000000BB1C: D1D30330 04C2974A
	v_max3_f32 v48, |v76|, |v77|, v48                          // 00000000BB24: D1D30330 04C29B4C
	v_max3_f32 v48, |v78|, |v79|, v48                          // 00000000BB2C: D1D30330 04C29F4E
	s_nop 2                                                    // 00000000BB34: BF800002
	v_rcp_f32_e32 v48, v48                                     // 00000000BB38: 7E604530
	s_nop 1                                                    // 00000000BB3C: BF800001
	v_mul_f32_e32 v48, 0x43e00000, v48                         // 00000000BB40: 0A6060FF 43E00000
	v_mul_f32_e32 v112, v48, v240                              // 00000000BB48: 0AE1E130
	v_mul_f32_e32 v113, v48, v241                              // 00000000BB4C: 0AE3E330
	v_mul_f32_e32 v114, v48, v242                              // 00000000BB50: 0AE5E530
	v_mul_f32_e32 v115, v48, v243                              // 00000000BB54: 0AE7E730
	v_mul_f32_e32 v116, v48, v244                              // 00000000BB58: 0AE9E930
	v_mul_f32_e32 v117, v48, v245                              // 00000000BB5C: 0AEBEB30
	v_mul_f32_e32 v118, v48, v246                              // 00000000BB60: 0AEDED30
	v_mul_f32_e32 v119, v48, v247                              // 00000000BB64: 0AEFEF30
	v_mul_f32_e32 v120, v48, v248                              // 00000000BB68: 0AF1F130
	v_mul_f32_e32 v121, v48, v249                              // 00000000BB6C: 0AF3F330
	v_mul_f32_e32 v122, v48, v250                              // 00000000BB70: 0AF5F530
	v_mul_f32_e32 v123, v48, v251                              // 00000000BB74: 0AF7F730
	v_mul_f32_e32 v124, v48, v252                              // 00000000BB78: 0AF9F930
	v_mul_f32_e32 v125, v48, v253                              // 00000000BB7C: 0AFBFB30
	v_mul_f32_e32 v126, v48, v254                              // 00000000BB80: 0AFDFD30
	v_mul_f32_e32 v127, v48, v255                              // 00000000BB84: 0AFFFF30
	v_cvt_pk_fp8_f32 v112, v112, v113                          // 00000000BB88: D2A20070 0002E370
	v_cvt_pk_fp8_f32 v112, v114, v115 op_sel:[0,0,1]           // 00000000BB90: D2A24070 0002E772
	v_cvt_pk_fp8_f32 v113, v116, v117                          // 00000000BB98: D2A20071 0002EB74
	v_cvt_pk_fp8_f32 v113, v118, v119 op_sel:[0,0,1]           // 00000000BBA0: D2A24071 0002EF76
	v_cvt_pk_fp8_f32 v114, v120, v121                          // 00000000BBA8: D2A20072 0002F378
	v_cvt_pk_fp8_f32 v114, v122, v123 op_sel:[0,0,1]           // 00000000BBB0: D2A24072 0002F77A
	v_cvt_pk_fp8_f32 v115, v124, v125                          // 00000000BBB8: D2A20073 0002FB7C
	v_cvt_pk_fp8_f32 v115, v126, v127 op_sel:[0,0,1]           // 00000000BBC0: D2A24073 0002FF7E
	ds_write_b32 v10, v112 offset:25088                        // 00000000BBC8: D81A6200 0000700A
	ds_write_b32 v10, v113 offset:26112                        // 00000000BBD0: D81A6600 0000710A
	ds_write_b32 v10, v114 offset:27136                        // 00000000BBD8: D81A6A00 0000720A
	ds_write_b32 v10, v115 offset:28160                        // 00000000BBE0: D81A6E00 0000730A
	v_add_f32_e32 v208, v208, v176                             // 00000000BBE8: 03A161D0
	v_add_f32_e32 v209, v209, v177                             // 00000000BBEC: 03A363D1
	v_add_f32_e32 v210, v210, v178                             // 00000000BBF0: 03A565D2
	v_add_f32_e32 v211, v211, v179                             // 00000000BBF4: 03A767D3
	v_add_f32_e32 v212, v212, v180                             // 00000000BBF8: 03A969D4
	v_add_f32_e32 v213, v213, v181                             // 00000000BBFC: 03AB6BD5
	v_add_f32_e32 v214, v214, v182                             // 00000000BC00: 03AD6DD6
	v_add_f32_e32 v215, v215, v183                             // 00000000BC04: 03AF6FD7
	v_rcp_f32_e32 v44, v48                                     // 00000000BC08: 7E584530
	s_waitcnt lgkmcnt(0)                                       // 00000000BC0C: BF8CC07F
	s_barrier                                                  // 00000000BC10: BF8A0000
	ds_read_b64 v[112:113], v9 offset:25088                    // 00000000BC14: D8EC6200 70000009
	ds_read_b64 v[114:115], v9 offset:25216                    // 00000000BC1C: D8EC6280 72000009
	ds_read_b64 v[116:117], v9 offset:26112                    // 00000000BC24: D8EC6600 74000009
	ds_read_b64 v[118:119], v9 offset:26240                    // 00000000BC2C: D8EC6680 76000009
	ds_read_b64 v[120:121], v9 offset:27136                    // 00000000BC34: D8EC6A00 78000009
	ds_read_b64 v[122:123], v9 offset:27264                    // 00000000BC3C: D8EC6A80 7A000009
	ds_read_b64 v[124:125], v9 offset:28160                    // 00000000BC44: D8EC6E00 7C000009
	ds_read_b64 v[126:127], v9 offset:28288                    // 00000000BC4C: D8EC6E80 7E000009
	v_mov_b32_dpp v64, v42 row_shr:4 row_mask:0xf bank_mask:0xf// 00000000BC54: 7E8002FA FF01142A
	v_mov_b32_dpp v65, v42 row_shl:4 row_mask:0xf bank_mask:0xf// 00000000BC5C: 7E8202FA FF01042A
	v_cndmask_b32_e64 v248, v42, v64, s[44:45]                 // 00000000BC64: D10000F8 00B2812A
	v_cndmask_b32_e64 v249, v65, v42, s[44:45]                 // 00000000BC6C: D10000F9 00B25541
	v_mov_b32_dpp v64, v248 row_shr:8 row_mask:0xf bank_mask:0xf// 00000000BC74: 7E8002FA FF0118F8
	v_mov_b32_dpp v65, v248 row_shl:8 row_mask:0xf bank_mask:0xf// 00000000BC7C: 7E8202FA FF0108F8
	v_mov_b32_dpp v66, v249 row_shr:8 row_mask:0xf bank_mask:0xf// 00000000BC84: 7E8402FA FF0118F9
	v_mov_b32_dpp v67, v249 row_shl:8 row_mask:0xf bank_mask:0xf// 00000000BC8C: 7E8602FA FF0108F9
	v_mov_b32_e32 v68, v248                                    // 00000000BC94: 7E8803F8
	v_mov_b32_e32 v69, v249                                    // 00000000BC98: 7E8A03F9
	v_cndmask_b32_e64 v248, v68, v64, s[42:43]                 // 00000000BC9C: D10000F8 00AA8144
	v_cndmask_b32_e64 v250, v68, v65, s[78:79]                 // 00000000BCA4: D10000FA 013A8344
	v_cndmask_b32_e64 v249, v69, v66, s[42:43]                 // 00000000BCAC: D10000F9 00AA8545
	v_cndmask_b32_e64 v251, v69, v67, s[78:79]                 // 00000000BCB4: D10000FB 013A8745
	v_mov_b32_dpp v64, v57 row_shr:4 row_mask:0xf bank_mask:0xf// 00000000BCBC: 7E8002FA FF011439
	v_mov_b32_dpp v65, v57 row_shl:4 row_mask:0xf bank_mask:0xf// 00000000BCC4: 7E8202FA FF010439
	v_cndmask_b32_e64 v252, v57, v64, s[44:45]                 // 00000000BCCC: D10000FC 00B28139
	v_cndmask_b32_e64 v253, v65, v57, s[44:45]                 // 00000000BCD4: D10000FD 00B27341
	v_mov_b32_dpp v64, v252 row_shr:8 row_mask:0xf bank_mask:0xf// 00000000BCDC: 7E8002FA FF0118FC
	v_mov_b32_dpp v65, v252 row_shl:8 row_mask:0xf bank_mask:0xf// 00000000BCE4: 7E8202FA FF0108FC
	v_mov_b32_dpp v66, v253 row_shr:8 row_mask:0xf bank_mask:0xf// 00000000BCEC: 7E8402FA FF0118FD
	v_mov_b32_dpp v67, v253 row_shl:8 row_mask:0xf bank_mask:0xf// 00000000BCF4: 7E8602FA FF0108FD
	v_mov_b32_e32 v68, v252                                    // 00000000BCFC: 7E8803FC
	v_mov_b32_e32 v69, v253                                    // 00000000BD00: 7E8A03FD
	v_cndmask_b32_e64 v252, v68, v64, s[42:43]                 // 00000000BD04: D10000FC 00AA8144
	v_cndmask_b32_e64 v254, v68, v65, s[78:79]                 // 00000000BD0C: D10000FE 013A8344
	v_cndmask_b32_e64 v253, v69, v66, s[42:43]                 // 00000000BD14: D10000FD 00AA8545
	v_cndmask_b32_e64 v255, v69, v67, s[78:79]                 // 00000000BD1C: D10000FF 013A8745
	v_mul_f32_e32 v128, v19, v128                              // 00000000BD24: 0B010113
	v_mul_f32_e32 v129, v19, v129                              // 00000000BD28: 0B030313
	v_mul_f32_e32 v130, v19, v130                              // 00000000BD2C: 0B050513
	v_mul_f32_e32 v131, v19, v131                              // 00000000BD30: 0B070713
	v_mul_f32_e32 v132, v19, v132                              // 00000000BD34: 0B090913
	v_mul_f32_e32 v133, v19, v133                              // 00000000BD38: 0B0B0B13
	v_mul_f32_e32 v134, v19, v134                              // 00000000BD3C: 0B0D0D13
	v_mul_f32_e32 v135, v19, v135                              // 00000000BD40: 0B0F0F13
	v_mul_f32_e32 v136, v19, v136                              // 00000000BD44: 0B111113
	v_mul_f32_e32 v137, v19, v137                              // 00000000BD48: 0B131313
	v_mul_f32_e32 v138, v19, v138                              // 00000000BD4C: 0B151513
	v_mul_f32_e32 v139, v19, v139                              // 00000000BD50: 0B171713
	v_mul_f32_e32 v140, v19, v140                              // 00000000BD54: 0B191913
	v_mul_f32_e32 v141, v19, v141                              // 00000000BD58: 0B1B1B13
	v_mul_f32_e32 v142, v19, v142                              // 00000000BD5C: 0B1D1D13
	v_mul_f32_e32 v143, v19, v143                              // 00000000BD60: 0B1F1F13
	v_mul_f32_dpp v128, v248, v128 quad_perm:[0,0,0,0] row_mask:0xf bank_mask:0xf// 00000000BD64: 0B0100FA FF0000F8
	v_mul_f32_dpp v129, v248, v129 quad_perm:[1,1,1,1] row_mask:0xf bank_mask:0xf// 00000000BD6C: 0B0302FA FF0055F8
	v_mul_f32_dpp v130, v248, v130 quad_perm:[2,2,2,2] row_mask:0xf bank_mask:0xf// 00000000BD74: 0B0504FA FF00AAF8
	v_mul_f32_dpp v131, v248, v131 quad_perm:[3,3,3,3] row_mask:0xf bank_mask:0xf// 00000000BD7C: 0B0706FA FF00FFF8
	v_mul_f32_dpp v132, v249, v132 quad_perm:[0,0,0,0] row_mask:0xf bank_mask:0xf// 00000000BD84: 0B0908FA FF0000F9
	v_mul_f32_dpp v133, v249, v133 quad_perm:[1,1,1,1] row_mask:0xf bank_mask:0xf// 00000000BD8C: 0B0B0AFA FF0055F9
	v_mul_f32_dpp v134, v249, v134 quad_perm:[2,2,2,2] row_mask:0xf bank_mask:0xf// 00000000BD94: 0B0D0CFA FF00AAF9
	v_mul_f32_dpp v135, v249, v135 quad_perm:[3,3,3,3] row_mask:0xf bank_mask:0xf// 00000000BD9C: 0B0F0EFA FF00FFF9
	v_mul_f32_dpp v136, v250, v136 quad_perm:[0,0,0,0] row_mask:0xf bank_mask:0xf// 00000000BDA4: 0B1110FA FF0000FA
	v_mul_f32_dpp v137, v250, v137 quad_perm:[1,1,1,1] row_mask:0xf bank_mask:0xf// 00000000BDAC: 0B1312FA FF0055FA
	v_mul_f32_dpp v138, v250, v138 quad_perm:[2,2,2,2] row_mask:0xf bank_mask:0xf// 00000000BDB4: 0B1514FA FF00AAFA
	v_mul_f32_dpp v139, v250, v139 quad_perm:[3,3,3,3] row_mask:0xf bank_mask:0xf// 00000000BDBC: 0B1716FA FF00FFFA
	v_mul_f32_dpp v140, v251, v140 quad_perm:[0,0,0,0] row_mask:0xf bank_mask:0xf// 00000000BDC4: 0B1918FA FF0000FB
	v_mul_f32_dpp v141, v251, v141 quad_perm:[1,1,1,1] row_mask:0xf bank_mask:0xf// 00000000BDCC: 0B1B1AFA FF0055FB
	v_mul_f32_dpp v142, v251, v142 quad_perm:[2,2,2,2] row_mask:0xf bank_mask:0xf// 00000000BDD4: 0B1D1CFA FF00AAFB
	v_mul_f32_dpp v143, v251, v143 quad_perm:[3,3,3,3] row_mask:0xf bank_mask:0xf// 00000000BDDC: 0B1F1EFA FF00FFFB
	s_and_b32 s60, s72, 0xff                                   // 00000000BDE4: 863CFF48 000000FF
	v_mov_b32_e32 v65, s60                                     // 00000000BDEC: 7E82023C
	v_lshrrev_b32_e32 v240, 4, v0                              // 00000000BDF0: 21E00084
	v_mul_i32_i24_e32 v240, 4, v240                            // 00000000BDF4: 0DE1E084
	s_mul_i32 s60, s7, 16                                      // 00000000BDF8: 923C9007
	v_add_u32_e32 v240, s60, v240                              // 00000000BDFC: 69E1E03C
	v_add_u32_e32 v241, 1, v240                                // 00000000BE00: 69E3E081
	v_add_u32_e32 v242, 2, v240                                // 00000000BE04: 69E5E082
	v_add_u32_e32 v243, 3, v240                                // 00000000BE08: 69E7E083
	v_mov_b32_e32 v64, 0xff800000                              // 00000000BE0C: 7E8002FF FF800000
	v_cmp_lt_u32_e64 s[40:41], v240, v65                       // 00000000BE14: D0C90028 000283F0
	v_add_u32_e32 v240, 64, v240                               // 00000000BE1C: 69E1E0C0
	s_nop 0                                                    // 00000000BE20: BF800000
	v_cndmask_b32_e64 v128, v64, v128, s[40:41]                // 00000000BE24: D1000080 00A30140
	v_cmp_lt_u32_e64 s[40:41], v241, v65                       // 00000000BE2C: D0C90028 000283F1
	v_add_u32_e32 v241, 64, v241                               // 00000000BE34: 69E3E2C0
	s_nop 0                                                    // 00000000BE38: BF800000
	v_cndmask_b32_e64 v129, v64, v129, s[40:41]                // 00000000BE3C: D1000081 00A30340
	v_cmp_lt_u32_e64 s[40:41], v242, v65                       // 00000000BE44: D0C90028 000283F2
	v_add_u32_e32 v242, 64, v242                               // 00000000BE4C: 69E5E4C0
	s_nop 0                                                    // 00000000BE50: BF800000
	v_cndmask_b32_e64 v130, v64, v130, s[40:41]                // 00000000BE54: D1000082 00A30540
	v_cmp_lt_u32_e64 s[40:41], v243, v65                       // 00000000BE5C: D0C90028 000283F3
	v_add_u32_e32 v243, 64, v243                               // 00000000BE64: 69E7E6C0
	s_nop 0                                                    // 00000000BE68: BF800000
	v_cndmask_b32_e64 v131, v64, v131, s[40:41]                // 00000000BE6C: D1000083 00A30740
	v_cmp_lt_u32_e64 s[40:41], v240, v65                       // 00000000BE74: D0C90028 000283F0
	v_add_u32_e32 v240, 64, v240                               // 00000000BE7C: 69E1E0C0
	s_nop 0                                                    // 00000000BE80: BF800000
	v_cndmask_b32_e64 v132, v64, v132, s[40:41]                // 00000000BE84: D1000084 00A30940
	v_cmp_lt_u32_e64 s[40:41], v241, v65                       // 00000000BE8C: D0C90028 000283F1
	v_add_u32_e32 v241, 64, v241                               // 00000000BE94: 69E3E2C0
	s_nop 0                                                    // 00000000BE98: BF800000
	v_cndmask_b32_e64 v133, v64, v133, s[40:41]                // 00000000BE9C: D1000085 00A30B40
	v_cmp_lt_u32_e64 s[40:41], v242, v65                       // 00000000BEA4: D0C90028 000283F2
	v_add_u32_e32 v242, 64, v242                               // 00000000BEAC: 69E5E4C0
	s_nop 0                                                    // 00000000BEB0: BF800000
	v_cndmask_b32_e64 v134, v64, v134, s[40:41]                // 00000000BEB4: D1000086 00A30D40
	v_cmp_lt_u32_e64 s[40:41], v243, v65                       // 00000000BEBC: D0C90028 000283F3
	v_add_u32_e32 v243, 64, v243                               // 00000000BEC4: 69E7E6C0
	s_nop 0                                                    // 00000000BEC8: BF800000
	v_cndmask_b32_e64 v135, v64, v135, s[40:41]                // 00000000BECC: D1000087 00A30F40
	v_cmp_lt_u32_e64 s[40:41], v240, v65                       // 00000000BED4: D0C90028 000283F0
	v_add_u32_e32 v240, 64, v240                               // 00000000BEDC: 69E1E0C0
	s_nop 0                                                    // 00000000BEE0: BF800000
	v_cndmask_b32_e64 v136, v64, v136, s[40:41]                // 00000000BEE4: D1000088 00A31140
	v_cmp_lt_u32_e64 s[40:41], v241, v65                       // 00000000BEEC: D0C90028 000283F1
	v_add_u32_e32 v241, 64, v241                               // 00000000BEF4: 69E3E2C0
	s_nop 0                                                    // 00000000BEF8: BF800000
	v_cndmask_b32_e64 v137, v64, v137, s[40:41]                // 00000000BEFC: D1000089 00A31340
	v_cmp_lt_u32_e64 s[40:41], v242, v65                       // 00000000BF04: D0C90028 000283F2
	v_add_u32_e32 v242, 64, v242                               // 00000000BF0C: 69E5E4C0
	s_nop 0                                                    // 00000000BF10: BF800000
	v_cndmask_b32_e64 v138, v64, v138, s[40:41]                // 00000000BF14: D100008A 00A31540
	v_cmp_lt_u32_e64 s[40:41], v243, v65                       // 00000000BF1C: D0C90028 000283F3
	v_add_u32_e32 v243, 64, v243                               // 00000000BF24: 69E7E6C0
	s_nop 0                                                    // 00000000BF28: BF800000
	v_cndmask_b32_e64 v139, v64, v139, s[40:41]                // 00000000BF2C: D100008B 00A31740
	v_cmp_lt_u32_e64 s[40:41], v240, v65                       // 00000000BF34: D0C90028 000283F0
	v_add_u32_e32 v240, 64, v240                               // 00000000BF3C: 69E1E0C0
	s_nop 0                                                    // 00000000BF40: BF800000
	v_cndmask_b32_e64 v140, v64, v140, s[40:41]                // 00000000BF44: D100008C 00A31940
	v_cmp_lt_u32_e64 s[40:41], v241, v65                       // 00000000BF4C: D0C90028 000283F1
	v_add_u32_e32 v241, 64, v241                               // 00000000BF54: 69E3E2C0
	s_nop 0                                                    // 00000000BF58: BF800000
	v_cndmask_b32_e64 v141, v64, v141, s[40:41]                // 00000000BF5C: D100008D 00A31B40
	v_cmp_lt_u32_e64 s[40:41], v242, v65                       // 00000000BF64: D0C90028 000283F2
	v_add_u32_e32 v242, 64, v242                               // 00000000BF6C: 69E5E4C0
	s_nop 0                                                    // 00000000BF70: BF800000
	v_cndmask_b32_e64 v142, v64, v142, s[40:41]                // 00000000BF74: D100008E 00A31D40
	v_cmp_lt_u32_e64 s[40:41], v243, v65                       // 00000000BF7C: D0C90028 000283F3
	v_add_u32_e32 v243, 64, v243                               // 00000000BF84: 69E7E6C0
	s_nop 0                                                    // 00000000BF88: BF800000
	v_cndmask_b32_e64 v143, v64, v143, s[40:41]                // 00000000BF8C: D100008F 00A31F40
	v_mov_b32_e32 v48, v128                                    // 00000000BF94: 7E600380
	v_max3_f32 v48, v128, v129, v48                            // 00000000BF98: D1D30030 04C30380
	v_max3_f32 v48, v130, v131, v48                            // 00000000BFA0: D1D30030 04C30782
	v_max3_f32 v48, v132, v133, v48                            // 00000000BFA8: D1D30030 04C30B84
	v_max3_f32 v48, v134, v135, v48                            // 00000000BFB0: D1D30030 04C30F86
	v_max3_f32 v48, v136, v137, v48                            // 00000000BFB8: D1D30030 04C31388
	v_max3_f32 v48, v138, v139, v48                            // 00000000BFC0: D1D30030 04C3178A
	v_max3_f32 v48, v140, v141, v48                            // 00000000BFC8: D1D30030 04C31B8C
	v_max3_f32 v48, v142, v143, v48                            // 00000000BFD0: D1D30030 04C31F8E
	ds_write_b32 v8, v48 offset:16896                          // 00000000BFD8: D81A4200 00003008
	v_mul_f32_e32 v216, v50, v216                              // 00000000BFE0: 0BB1B132
	v_mul_f32_e32 v217, v50, v217                              // 00000000BFE4: 0BB3B332
	v_mul_f32_e32 v218, v50, v218                              // 00000000BFE8: 0BB5B532
	v_mul_f32_e32 v219, v50, v219                              // 00000000BFEC: 0BB7B732
	v_mul_f32_e32 v220, v50, v220                              // 00000000BFF0: 0BB9B932
	v_mul_f32_e32 v221, v50, v221                              // 00000000BFF4: 0BBBBB32
	v_mul_f32_e32 v222, v50, v222                              // 00000000BFF8: 0BBDBD32
	v_mul_f32_e32 v223, v50, v223                              // 00000000BFFC: 0BBFBF32
	s_waitcnt lgkmcnt(0)                                       // 00000000C000: BF8CC07F
	s_barrier                                                  // 00000000C004: BF8A0000
	ds_read_b32 v64, v7 offset:16896                           // 00000000C008: D86C4200 40000007
	ds_read_b32 v65, v7 offset:16960                           // 00000000C010: D86C4240 41000007
	ds_read_b32 v66, v7 offset:17024                           // 00000000C018: D86C4280 42000007
	ds_read_b32 v67, v7 offset:17088                           // 00000000C020: D86C42C0 43000007
	ds_read_b32 v68, v7 offset:17152                           // 00000000C028: D86C4300 44000007
	ds_read_b32 v69, v7 offset:17216                           // 00000000C030: D86C4340 45000007
	ds_read_b32 v70, v7 offset:17280                           // 00000000C038: D86C4380 46000007
	ds_read_b32 v71, v7 offset:17344                           // 00000000C040: D86C43C0 47000007
	ds_read_b32 v72, v7 offset:17408                           // 00000000C048: D86C4400 48000007
	ds_read_b32 v73, v7 offset:17472                           // 00000000C050: D86C4440 49000007
	ds_read_b32 v74, v7 offset:17536                           // 00000000C058: D86C4480 4A000007
	ds_read_b32 v75, v7 offset:17600                           // 00000000C060: D86C44C0 4B000007
	ds_read_b32 v76, v7 offset:17664                           // 00000000C068: D86C4500 4C000007
	ds_read_b32 v77, v7 offset:17728                           // 00000000C070: D86C4540 4D000007
	ds_read_b32 v78, v7 offset:17792                           // 00000000C078: D86C4580 4E000007
	ds_read_b32 v79, v7 offset:17856                           // 00000000C080: D86C45C0 4F000007
	v_mul_f32_e32 v184, v45, v184                              // 00000000C088: 0B71712D
	v_mul_f32_e32 v185, v45, v185                              // 00000000C08C: 0B73732D
	v_mul_f32_e32 v186, v45, v186                              // 00000000C090: 0B75752D
	v_mul_f32_e32 v187, v45, v187                              // 00000000C094: 0B77772D
	v_mul_f32_e32 v188, v45, v188                              // 00000000C098: 0B79792D
	v_mul_f32_e32 v189, v45, v189                              // 00000000C09C: 0B7B7B2D
	v_mul_f32_e32 v190, v45, v190                              // 00000000C0A0: 0B7D7D2D
	v_mul_f32_e32 v191, v45, v191                              // 00000000C0A4: 0B7F7F2D
	s_waitcnt lgkmcnt(0)                                       // 00000000C0A8: BF8CC07F
	v_max3_f32 v48, v64, v65, v48                              // 00000000C0AC: D1D30030 04C28340
	v_max3_f32 v48, v66, v67, v48                              // 00000000C0B4: D1D30030 04C28742
	v_max3_f32 v48, v68, v69, v48                              // 00000000C0BC: D1D30030 04C28B44
	v_max3_f32 v48, v70, v71, v48                              // 00000000C0C4: D1D30030 04C28F46
	v_max3_f32 v48, v72, v73, v48                              // 00000000C0CC: D1D30030 04C29348
	v_max3_f32 v48, v74, v75, v48                              // 00000000C0D4: D1D30030 04C2974A
	v_max3_f32 v48, v76, v77, v48                              // 00000000C0DC: D1D30030 04C29B4C
	v_max3_f32 v48, v78, v79, v48                              // 00000000C0E4: D1D30030 04C29F4E
	v_mov_b32_e32 v64, 0xff800000                              // 00000000C0EC: 7E8002FF FF800000
	v_cmp_eq_u32_e64 s[40:41], v64, v12                        // 00000000C0F4: D0CA0028 00021940
	s_nop 1                                                    // 00000000C0FC: BF800001
	v_max_f32_e32 v15, v48, v12                                // 00000000C100: 161E1930
	v_mul_f32_e32 v53, s64, v15                                // 00000000C104: 0A6A1E40
	v_fma_f32 v128, v128, s64, -v53                            // 00000000C108: D1CB0080 84D48180
	v_fma_f32 v129, v129, s64, -v53                            // 00000000C110: D1CB0081 84D48181
	v_fma_f32 v130, v130, s64, -v53                            // 00000000C118: D1CB0082 84D48182
	v_fma_f32 v131, v131, s64, -v53                            // 00000000C120: D1CB0083 84D48183
	v_fma_f32 v132, v132, s64, -v53                            // 00000000C128: D1CB0084 84D48184
	v_fma_f32 v133, v133, s64, -v53                            // 00000000C130: D1CB0085 84D48185
	v_fma_f32 v134, v134, s64, -v53                            // 00000000C138: D1CB0086 84D48186
	v_fma_f32 v135, v135, s64, -v53                            // 00000000C140: D1CB0087 84D48187
	v_fma_f32 v136, v136, s64, -v53                            // 00000000C148: D1CB0088 84D48188
	v_fma_f32 v137, v137, s64, -v53                            // 00000000C150: D1CB0089 84D48189
	v_fma_f32 v138, v138, s64, -v53                            // 00000000C158: D1CB008A 84D4818A
	v_fma_f32 v139, v139, s64, -v53                            // 00000000C160: D1CB008B 84D4818B
	v_fma_f32 v140, v140, s64, -v53                            // 00000000C168: D1CB008C 84D4818C
	v_fma_f32 v141, v141, s64, -v53                            // 00000000C170: D1CB008D 84D4818D
	v_fma_f32 v142, v142, s64, -v53                            // 00000000C178: D1CB008E 84D4818E
	v_fma_f32 v143, v143, s64, -v53                            // 00000000C180: D1CB008F 84D4818F
	v_exp_f32_e32 v128, v128                                   // 00000000C188: 7F004180
	v_exp_f32_e32 v129, v129                                   // 00000000C18C: 7F024181
	v_exp_f32_e32 v130, v130                                   // 00000000C190: 7F044182
	v_exp_f32_e32 v131, v131                                   // 00000000C194: 7F064183
	v_exp_f32_e32 v132, v132                                   // 00000000C198: 7F084184
	v_exp_f32_e32 v133, v133                                   // 00000000C19C: 7F0A4185
	v_exp_f32_e32 v134, v134                                   // 00000000C1A0: 7F0C4186
	v_exp_f32_e32 v135, v135                                   // 00000000C1A4: 7F0E4187
	v_exp_f32_e32 v136, v136                                   // 00000000C1A8: 7F104188
	v_exp_f32_e32 v137, v137                                   // 00000000C1AC: 7F124189
	v_exp_f32_e32 v138, v138                                   // 00000000C1B0: 7F14418A
	v_exp_f32_e32 v139, v139                                   // 00000000C1B4: 7F16418B
	v_exp_f32_e32 v140, v140                                   // 00000000C1B8: 7F18418C
	v_exp_f32_e32 v141, v141                                   // 00000000C1BC: 7F1A418D
	v_exp_f32_e32 v142, v142                                   // 00000000C1C0: 7F1C418E
	v_exp_f32_e32 v143, v143                                   // 00000000C1C4: 7F1E418F
	v_mul_f32_dpp v240, v252, v128 quad_perm:[0,0,0,0] row_mask:0xf bank_mask:0xf// 00000000C1C8: 0BE100FA FF0000FC
	v_mul_f32_dpp v241, v252, v129 quad_perm:[1,1,1,1] row_mask:0xf bank_mask:0xf// 00000000C1D0: 0BE302FA FF0055FC
	v_mul_f32_dpp v242, v252, v130 quad_perm:[2,2,2,2] row_mask:0xf bank_mask:0xf// 00000000C1D8: 0BE504FA FF00AAFC
	v_mul_f32_dpp v243, v252, v131 quad_perm:[3,3,3,3] row_mask:0xf bank_mask:0xf// 00000000C1E0: 0BE706FA FF00FFFC
	v_mul_f32_dpp v244, v253, v132 quad_perm:[0,0,0,0] row_mask:0xf bank_mask:0xf// 00000000C1E8: 0BE908FA FF0000FD
	v_mul_f32_dpp v245, v253, v133 quad_perm:[1,1,1,1] row_mask:0xf bank_mask:0xf// 00000000C1F0: 0BEB0AFA FF0055FD
	v_mul_f32_dpp v246, v253, v134 quad_perm:[2,2,2,2] row_mask:0xf bank_mask:0xf// 00000000C1F8: 0BED0CFA FF00AAFD
	v_mul_f32_dpp v247, v253, v135 quad_perm:[3,3,3,3] row_mask:0xf bank_mask:0xf// 00000000C200: 0BEF0EFA FF00FFFD
	v_mul_f32_dpp v248, v254, v136 quad_perm:[0,0,0,0] row_mask:0xf bank_mask:0xf// 00000000C208: 0BF110FA FF0000FE
	v_mul_f32_dpp v249, v254, v137 quad_perm:[1,1,1,1] row_mask:0xf bank_mask:0xf// 00000000C210: 0BF312FA FF0055FE
	v_mul_f32_dpp v250, v254, v138 quad_perm:[2,2,2,2] row_mask:0xf bank_mask:0xf// 00000000C218: 0BF514FA FF00AAFE
	v_mul_f32_dpp v251, v254, v139 quad_perm:[3,3,3,3] row_mask:0xf bank_mask:0xf// 00000000C220: 0BF716FA FF00FFFE
	v_mul_f32_dpp v252, v255, v140 quad_perm:[0,0,0,0] row_mask:0xf bank_mask:0xf// 00000000C228: 0BF918FA FF0000FF
	v_mul_f32_dpp v253, v255, v141 quad_perm:[1,1,1,1] row_mask:0xf bank_mask:0xf// 00000000C230: 0BFB1AFA FF0055FF
	v_mul_f32_dpp v254, v255, v142 quad_perm:[2,2,2,2] row_mask:0xf bank_mask:0xf// 00000000C238: 0BFD1CFA FF00AAFF
	v_mul_f32_dpp v255, v255, v143 quad_perm:[3,3,3,3] row_mask:0xf bank_mask:0xf// 00000000C240: 0BFF1EFA FF00FFFF
	v_mov_b32_e32 v48, 0x358637bd                              // 00000000C248: 7E6002FF 358637BD
	v_max3_f32 v48, |v240|, |v241|, v48                        // 00000000C250: D1D30330 04C3E3F0
	v_max3_f32 v48, |v242|, |v243|, v48                        // 00000000C258: D1D30330 04C3E7F2
	v_max3_f32 v48, |v244|, |v245|, v48                        // 00000000C260: D1D30330 04C3EBF4
	v_max3_f32 v48, |v246|, |v247|, v48                        // 00000000C268: D1D30330 04C3EFF6
	v_max3_f32 v48, |v248|, |v249|, v48                        // 00000000C270: D1D30330 04C3F3F8
	v_max3_f32 v48, |v250|, |v251|, v48                        // 00000000C278: D1D30330 04C3F7FA
	v_max3_f32 v48, |v252|, |v253|, v48                        // 00000000C280: D1D30330 04C3FBFC
	v_max3_f32 v48, |v254|, |v255|, v48                        // 00000000C288: D1D30330 04C3FFFE
	ds_write_b32 v8, v48 offset:20992                          // 00000000C290: D81A5200 00003008
	v_sub_f32_e32 v50, v12, v15                                // 00000000C298: 04641F0C
	v_cndmask_b32_e64 v50, v50, 0, s[40:41]                    // 00000000C29C: D1000032 00A10132
	v_mov_b32_e32 v12, v15                                     // 00000000C2A4: 7E18030F
	v_mul_f32_e32 v50, s64, v50                                // 00000000C2A8: 0A646440
	v_exp_f32_e32 v50, v50                                     // 00000000C2AC: 7E644132
	s_waitcnt lgkmcnt(0)                                       // 00000000C2B0: BF8CC07F
	s_barrier                                                  // 00000000C2B4: BF8A0000
	ds_read_b32 v64, v7 offset:20992                           // 00000000C2B8: D86C5200 40000007
	ds_read_b32 v65, v7 offset:21056                           // 00000000C2C0: D86C5240 41000007
	ds_read_b32 v66, v7 offset:21120                           // 00000000C2C8: D86C5280 42000007
	ds_read_b32 v67, v7 offset:21184                           // 00000000C2D0: D86C52C0 43000007
	ds_read_b32 v68, v7 offset:21248                           // 00000000C2D8: D86C5300 44000007
	ds_read_b32 v69, v7 offset:21312                           // 00000000C2E0: D86C5340 45000007
	ds_read_b32 v70, v7 offset:21376                           // 00000000C2E8: D86C5380 46000007
	ds_read_b32 v71, v7 offset:21440                           // 00000000C2F0: D86C53C0 47000007
	ds_read_b32 v72, v7 offset:21504                           // 00000000C2F8: D86C5400 48000007
	ds_read_b32 v73, v7 offset:21568                           // 00000000C300: D86C5440 49000007
	ds_read_b32 v74, v7 offset:21632                           // 00000000C308: D86C5480 4A000007
	ds_read_b32 v75, v7 offset:21696                           // 00000000C310: D86C54C0 4B000007
	ds_read_b32 v76, v7 offset:21760                           // 00000000C318: D86C5500 4C000007
	ds_read_b32 v77, v7 offset:21824                           // 00000000C320: D86C5540 4D000007
	ds_read_b32 v78, v7 offset:21888                           // 00000000C328: D86C5580 4E000007
	ds_read_b32 v79, v7 offset:21952                           // 00000000C330: D86C55C0 4F000007
	v_mul_f32_e32 v39, v50, v39                                // 00000000C338: 0A4E4F32
	v_mov_b32_e32 v15, v128                                    // 00000000C33C: 7E1E0380
	v_add_f32_e32 v15, v129, v15                               // 00000000C340: 021E1F81
	v_add_f32_e32 v15, v130, v15                               // 00000000C344: 021E1F82
	v_add_f32_e32 v15, v131, v15                               // 00000000C348: 021E1F83
	v_add_f32_e32 v15, v132, v15                               // 00000000C34C: 021E1F84
	v_add_f32_e32 v15, v133, v15                               // 00000000C350: 021E1F85
	v_add_f32_e32 v15, v134, v15                               // 00000000C354: 021E1F86
	v_add_f32_e32 v15, v135, v15                               // 00000000C358: 021E1F87
	v_add_f32_e32 v15, v136, v15                               // 00000000C35C: 021E1F88
	v_add_f32_e32 v15, v137, v15                               // 00000000C360: 021E1F89
	v_add_f32_e32 v15, v138, v15                               // 00000000C364: 021E1F8A
	v_add_f32_e32 v15, v139, v15                               // 00000000C368: 021E1F8B
	v_add_f32_e32 v15, v140, v15                               // 00000000C36C: 021E1F8C
	v_add_f32_e32 v15, v141, v15                               // 00000000C370: 021E1F8D
	v_add_f32_e32 v15, v142, v15                               // 00000000C374: 021E1F8E
	v_add_f32_e32 v15, v143, v15                               // 00000000C378: 021E1F8F
	v_add_f32_e32 v39, v15, v39                                // 00000000C37C: 024E4F0F
	s_waitcnt lgkmcnt(0)                                       // 00000000C380: BF8CC07F
	v_max3_f32 v48, |v64|, |v65|, v48                          // 00000000C384: D1D30330 04C28340
	v_max3_f32 v48, |v66|, |v67|, v48                          // 00000000C38C: D1D30330 04C28742
	v_max3_f32 v48, |v68|, |v69|, v48                          // 00000000C394: D1D30330 04C28B44
	v_max3_f32 v48, |v70|, |v71|, v48                          // 00000000C39C: D1D30330 04C28F46
	v_max3_f32 v48, |v72|, |v73|, v48                          // 00000000C3A4: D1D30330 04C29348
	v_max3_f32 v48, |v74|, |v75|, v48                          // 00000000C3AC: D1D30330 04C2974A
	v_max3_f32 v48, |v76|, |v77|, v48                          // 00000000C3B4: D1D30330 04C29B4C
	v_max3_f32 v48, |v78|, |v79|, v48                          // 00000000C3BC: D1D30330 04C29F4E
	s_nop 2                                                    // 00000000C3C4: BF800002
	v_rcp_f32_e32 v48, v48                                     // 00000000C3C8: 7E604530
	s_nop 1                                                    // 00000000C3CC: BF800001
	v_mul_f32_e32 v48, 0x43e00000, v48                         // 00000000C3D0: 0A6060FF 43E00000
	v_mul_f32_e32 v128, v48, v240                              // 00000000C3D8: 0B01E130
	v_mul_f32_e32 v129, v48, v241                              // 00000000C3DC: 0B03E330
	v_mul_f32_e32 v130, v48, v242                              // 00000000C3E0: 0B05E530
	v_mul_f32_e32 v131, v48, v243                              // 00000000C3E4: 0B07E730
	v_mul_f32_e32 v132, v48, v244                              // 00000000C3E8: 0B09E930
	v_mul_f32_e32 v133, v48, v245                              // 00000000C3EC: 0B0BEB30
	v_mul_f32_e32 v134, v48, v246                              // 00000000C3F0: 0B0DED30
	v_mul_f32_e32 v135, v48, v247                              // 00000000C3F4: 0B0FEF30
	v_mul_f32_e32 v136, v48, v248                              // 00000000C3F8: 0B11F130
	v_mul_f32_e32 v137, v48, v249                              // 00000000C3FC: 0B13F330
	v_mul_f32_e32 v138, v48, v250                              // 00000000C400: 0B15F530
	v_mul_f32_e32 v139, v48, v251                              // 00000000C404: 0B17F730
	v_mul_f32_e32 v140, v48, v252                              // 00000000C408: 0B19F930
	v_mul_f32_e32 v141, v48, v253                              // 00000000C40C: 0B1BFB30
	v_mul_f32_e32 v142, v48, v254                              // 00000000C410: 0B1DFD30
	v_mul_f32_e32 v143, v48, v255                              // 00000000C414: 0B1FFF30
	v_cvt_pk_fp8_f32 v128, v128, v129                          // 00000000C418: D2A20080 00030380
	v_cvt_pk_fp8_f32 v128, v130, v131 op_sel:[0,0,1]           // 00000000C420: D2A24080 00030782
	v_cvt_pk_fp8_f32 v129, v132, v133                          // 00000000C428: D2A20081 00030B84
	v_cvt_pk_fp8_f32 v129, v134, v135 op_sel:[0,0,1]           // 00000000C430: D2A24081 00030F86
	v_cvt_pk_fp8_f32 v130, v136, v137                          // 00000000C438: D2A20082 00031388
	v_cvt_pk_fp8_f32 v130, v138, v139 op_sel:[0,0,1]           // 00000000C440: D2A24082 0003178A
	v_cvt_pk_fp8_f32 v131, v140, v141                          // 00000000C448: D2A20083 00031B8C
	v_cvt_pk_fp8_f32 v131, v142, v143 op_sel:[0,0,1]           // 00000000C450: D2A24083 00031F8E
	ds_write_b32 v10, v128 offset:29184                        // 00000000C458: D81A7200 0000800A
	ds_write_b32 v10, v129 offset:30208                        // 00000000C460: D81A7600 0000810A
	ds_write_b32 v10, v130 offset:31232                        // 00000000C468: D81A7A00 0000820A
	ds_write_b32 v10, v131 offset:32256                        // 00000000C470: D81A7E00 0000830A
	v_add_f32_e32 v216, v216, v184                             // 00000000C478: 03B171D8
	v_add_f32_e32 v217, v217, v185                             // 00000000C47C: 03B373D9
	v_add_f32_e32 v218, v218, v186                             // 00000000C480: 03B575DA
	v_add_f32_e32 v219, v219, v187                             // 00000000C484: 03B777DB
	v_add_f32_e32 v220, v220, v188                             // 00000000C488: 03B979DC
	v_add_f32_e32 v221, v221, v189                             // 00000000C48C: 03BB7BDD
	v_add_f32_e32 v222, v222, v190                             // 00000000C490: 03BD7DDE
	v_add_f32_e32 v223, v223, v191                             // 00000000C494: 03BF7FDF
	v_rcp_f32_e32 v45, v48                                     // 00000000C498: 7E5A4530
	s_waitcnt lgkmcnt(0)                                       // 00000000C49C: BF8CC07F
	s_barrier                                                  // 00000000C4A0: BF8A0000
	ds_read_b64 v[128:129], v9 offset:29184                    // 00000000C4A4: D8EC7200 80000009
	ds_read_b64 v[130:131], v9 offset:29312                    // 00000000C4AC: D8EC7280 82000009
	ds_read_b64 v[132:133], v9 offset:30208                    // 00000000C4B4: D8EC7600 84000009
	ds_read_b64 v[134:135], v9 offset:30336                    // 00000000C4BC: D8EC7680 86000009
	ds_read_b64 v[136:137], v9 offset:31232                    // 00000000C4C4: D8EC7A00 88000009
	ds_read_b64 v[138:139], v9 offset:31360                    // 00000000C4CC: D8EC7A80 8A000009
	ds_read_b64 v[140:141], v9 offset:32256                    // 00000000C4D4: D8EC7E00 8C000009
	ds_read_b64 v[142:143], v9 offset:32384                    // 00000000C4DC: D8EC7E80 8E000009
	s_waitcnt vmcnt(0)                                         // 00000000C4E4: BF8C0F70
	s_barrier                                                  // 00000000C4E8: BF8A0000
	v_mfma_f32_16x16x32_fp8_fp8 v[176:179], a[64:65], v[112:113], 0// 00000000C4EC: D3F300B0 0A02E140
	v_mfma_f32_16x16x32_fp8_fp8 v[176:179], a[66:67], v[114:115], v[176:179]// 00000000C4F4: D3F300B0 0EC2E542
	v_mfma_f32_16x16x32_fp8_fp8 v[176:179], a[68:69], v[116:117], v[176:179]// 00000000C4FC: D3F300B0 0EC2E944
	v_mfma_f32_16x16x32_fp8_fp8 v[176:179], a[70:71], v[118:119], v[176:179]// 00000000C504: D3F300B0 0EC2ED46
	v_mfma_f32_16x16x32_fp8_fp8 v[176:179], a[72:73], v[120:121], v[176:179]// 00000000C50C: D3F300B0 0EC2F148
	v_mfma_f32_16x16x32_fp8_fp8 v[176:179], a[74:75], v[122:123], v[176:179]// 00000000C514: D3F300B0 0EC2F54A
	v_mfma_f32_16x16x32_fp8_fp8 v[176:179], a[76:77], v[124:125], v[176:179]// 00000000C51C: D3F300B0 0EC2F94C
	v_mfma_f32_16x16x32_fp8_fp8 v[176:179], a[78:79], v[126:127], v[176:179]// 00000000C524: D3F300B0 0EC2FD4E
	v_mfma_f32_16x16x32_fp8_fp8 v[180:183], a[80:81], v[112:113], 0// 00000000C52C: D3F300B4 0A02E150
	v_mfma_f32_16x16x32_fp8_fp8 v[180:183], a[82:83], v[114:115], v[180:183]// 00000000C534: D3F300B4 0ED2E552
	v_mfma_f32_16x16x32_fp8_fp8 v[180:183], a[84:85], v[116:117], v[180:183]// 00000000C53C: D3F300B4 0ED2E954
	v_mfma_f32_16x16x32_fp8_fp8 v[180:183], a[86:87], v[118:119], v[180:183]// 00000000C544: D3F300B4 0ED2ED56
	v_mfma_f32_16x16x32_fp8_fp8 v[180:183], a[88:89], v[120:121], v[180:183]// 00000000C54C: D3F300B4 0ED2F158
	v_mfma_f32_16x16x32_fp8_fp8 v[180:183], a[90:91], v[122:123], v[180:183]// 00000000C554: D3F300B4 0ED2F55A
	v_mfma_f32_16x16x32_fp8_fp8 v[180:183], a[92:93], v[124:125], v[180:183]// 00000000C55C: D3F300B4 0ED2F95C
	v_mfma_f32_16x16x32_fp8_fp8 v[180:183], a[94:95], v[126:127], v[180:183]// 00000000C564: D3F300B4 0ED2FD5E
	v_mfma_f32_16x16x32_fp8_fp8 v[184:187], a[64:65], v[128:129], 0// 00000000C56C: D3F300B8 0A030140
	v_mfma_f32_16x16x32_fp8_fp8 v[184:187], a[66:67], v[130:131], v[184:187]// 00000000C574: D3F300B8 0EE30542
	v_mfma_f32_16x16x32_fp8_fp8 v[184:187], a[68:69], v[132:133], v[184:187]// 00000000C57C: D3F300B8 0EE30944
	v_mfma_f32_16x16x32_fp8_fp8 v[184:187], a[70:71], v[134:135], v[184:187]// 00000000C584: D3F300B8 0EE30D46
	v_mfma_f32_16x16x32_fp8_fp8 v[184:187], a[72:73], v[136:137], v[184:187]// 00000000C58C: D3F300B8 0EE31148
	v_mfma_f32_16x16x32_fp8_fp8 v[184:187], a[74:75], v[138:139], v[184:187]// 00000000C594: D3F300B8 0EE3154A
	v_mfma_f32_16x16x32_fp8_fp8 v[184:187], a[76:77], v[140:141], v[184:187]// 00000000C59C: D3F300B8 0EE3194C
	v_mfma_f32_16x16x32_fp8_fp8 v[184:187], a[78:79], v[142:143], v[184:187]// 00000000C5A4: D3F300B8 0EE31D4E
	v_mfma_f32_16x16x32_fp8_fp8 v[188:191], a[80:81], v[128:129], 0// 00000000C5AC: D3F300BC 0A030150
	v_mfma_f32_16x16x32_fp8_fp8 v[188:191], a[82:83], v[130:131], v[188:191]// 00000000C5B4: D3F300BC 0EF30552
	v_mfma_f32_16x16x32_fp8_fp8 v[188:191], a[84:85], v[132:133], v[188:191]// 00000000C5BC: D3F300BC 0EF30954
	v_mfma_f32_16x16x32_fp8_fp8 v[188:191], a[86:87], v[134:135], v[188:191]// 00000000C5C4: D3F300BC 0EF30D56
	v_mfma_f32_16x16x32_fp8_fp8 v[188:191], a[88:89], v[136:137], v[188:191]// 00000000C5CC: D3F300BC 0EF31158
	v_mfma_f32_16x16x32_fp8_fp8 v[188:191], a[90:91], v[138:139], v[188:191]// 00000000C5D4: D3F300BC 0EF3155A
	v_mfma_f32_16x16x32_fp8_fp8 v[188:191], a[92:93], v[140:141], v[188:191]// 00000000C5DC: D3F300BC 0EF3195C
	v_mfma_f32_16x16x32_fp8_fp8 v[188:191], a[94:95], v[142:143], v[188:191]// 00000000C5E4: D3F300BC 0EF31D5E
	s_nop 4                                                    // 00000000C5EC: BF800004
	s_branch label_2DD7                                        // 00000000C5F0: BF8204DA

000000000000c5f4 <label_28FD>:
	s_waitcnt vmcnt(8) lgkmcnt(0)                              // 00000000C5F4: BF8C0078
	s_barrier                                                  // 00000000C5F8: BF8A0000
	v_mfma_f32_16x16x32_fp8_fp8 v[112:115], a[32:33], v[80:81], 0// 00000000C5FC: D3F30070 0A02A120
	v_mfma_f32_16x16x32_fp8_fp8 v[112:115], a[34:35], v[82:83], v[112:115]// 00000000C604: D3F30070 0DC2A522
	v_mfma_f32_16x16x32_fp8_fp8 v[112:115], a[36:37], v[84:85], v[112:115]// 00000000C60C: D3F30070 0DC2A924
	v_mfma_f32_16x16x32_fp8_fp8 v[112:115], a[38:39], v[86:87], v[112:115]// 00000000C614: D3F30070 0DC2AD26
	v_mfma_f32_16x16x32_fp8_fp8 v[116:119], a[40:41], v[80:81], 0// 00000000C61C: D3F30074 0A02A128
	v_mfma_f32_16x16x32_fp8_fp8 v[116:119], a[42:43], v[82:83], v[116:119]// 00000000C624: D3F30074 0DD2A52A
	v_mfma_f32_16x16x32_fp8_fp8 v[116:119], a[44:45], v[84:85], v[116:119]// 00000000C62C: D3F30074 0DD2A92C
	v_mfma_f32_16x16x32_fp8_fp8 v[116:119], a[46:47], v[86:87], v[116:119]// 00000000C634: D3F30074 0DD2AD2E
	v_mfma_f32_16x16x32_fp8_fp8 v[120:123], a[48:49], v[80:81], 0// 00000000C63C: D3F30078 0A02A130
	v_mfma_f32_16x16x32_fp8_fp8 v[120:123], a[50:51], v[82:83], v[120:123]// 00000000C644: D3F30078 0DE2A532
	v_mfma_f32_16x16x32_fp8_fp8 v[120:123], a[52:53], v[84:85], v[120:123]// 00000000C64C: D3F30078 0DE2A934
	v_mfma_f32_16x16x32_fp8_fp8 v[120:123], a[54:55], v[86:87], v[120:123]// 00000000C654: D3F30078 0DE2AD36
	v_mfma_f32_16x16x32_fp8_fp8 v[124:127], a[56:57], v[80:81], 0// 00000000C65C: D3F3007C 0A02A138
	v_mfma_f32_16x16x32_fp8_fp8 v[124:127], a[58:59], v[82:83], v[124:127]// 00000000C664: D3F3007C 0DF2A53A
	v_mfma_f32_16x16x32_fp8_fp8 v[124:127], a[60:61], v[84:85], v[124:127]// 00000000C66C: D3F3007C 0DF2A93C
	v_mfma_f32_16x16x32_fp8_fp8 v[124:127], a[62:63], v[86:87], v[124:127]// 00000000C674: D3F3007C 0DF2AD3E
	v_mfma_f32_16x16x32_fp8_fp8 v[128:131], a[32:33], v[88:89], 0// 00000000C67C: D3F30080 0A02B120
	v_mfma_f32_16x16x32_fp8_fp8 v[128:131], a[34:35], v[90:91], v[128:131]// 00000000C684: D3F30080 0E02B522
	v_mfma_f32_16x16x32_fp8_fp8 v[128:131], a[36:37], v[92:93], v[128:131]// 00000000C68C: D3F30080 0E02B924
	v_mfma_f32_16x16x32_fp8_fp8 v[128:131], a[38:39], v[94:95], v[128:131]// 00000000C694: D3F30080 0E02BD26
	v_mfma_f32_16x16x32_fp8_fp8 v[132:135], a[40:41], v[88:89], 0// 00000000C69C: D3F30084 0A02B128
	v_mfma_f32_16x16x32_fp8_fp8 v[132:135], a[42:43], v[90:91], v[132:135]// 00000000C6A4: D3F30084 0E12B52A
	v_mfma_f32_16x16x32_fp8_fp8 v[132:135], a[44:45], v[92:93], v[132:135]// 00000000C6AC: D3F30084 0E12B92C
	v_mfma_f32_16x16x32_fp8_fp8 v[132:135], a[46:47], v[94:95], v[132:135]// 00000000C6B4: D3F30084 0E12BD2E
	v_mfma_f32_16x16x32_fp8_fp8 v[136:139], a[48:49], v[88:89], 0// 00000000C6BC: D3F30088 0A02B130
	v_mfma_f32_16x16x32_fp8_fp8 v[136:139], a[50:51], v[90:91], v[136:139]// 00000000C6C4: D3F30088 0E22B532
	v_mfma_f32_16x16x32_fp8_fp8 v[136:139], a[52:53], v[92:93], v[136:139]// 00000000C6CC: D3F30088 0E22B934
	v_mfma_f32_16x16x32_fp8_fp8 v[136:139], a[54:55], v[94:95], v[136:139]// 00000000C6D4: D3F30088 0E22BD36
	v_mfma_f32_16x16x32_fp8_fp8 v[140:143], a[56:57], v[88:89], 0// 00000000C6DC: D3F3008C 0A02B138
	v_mfma_f32_16x16x32_fp8_fp8 v[140:143], a[58:59], v[90:91], v[140:143]// 00000000C6E4: D3F3008C 0E32B53A
	v_mfma_f32_16x16x32_fp8_fp8 v[140:143], a[60:61], v[92:93], v[140:143]// 00000000C6EC: D3F3008C 0E32B93C
	v_mfma_f32_16x16x32_fp8_fp8 v[140:143], a[62:63], v[94:95], v[140:143]// 00000000C6F4: D3F3008C 0E32BD3E
	v_mov_b32_dpp v64, v43 row_shr:4 row_mask:0xf bank_mask:0xf// 00000000C6FC: 7E8002FA FF01142B
	v_mov_b32_dpp v65, v43 row_shl:4 row_mask:0xf bank_mask:0xf// 00000000C704: 7E8202FA FF01042B
	v_cndmask_b32_e64 v248, v43, v64, s[44:45]                 // 00000000C70C: D10000F8 00B2812B
	v_cndmask_b32_e64 v249, v65, v43, s[44:45]                 // 00000000C714: D10000F9 00B25741
	v_mov_b32_dpp v64, v248 row_shr:8 row_mask:0xf bank_mask:0xf// 00000000C71C: 7E8002FA FF0118F8
	v_mov_b32_dpp v65, v248 row_shl:8 row_mask:0xf bank_mask:0xf// 00000000C724: 7E8202FA FF0108F8
	v_mov_b32_dpp v66, v249 row_shr:8 row_mask:0xf bank_mask:0xf// 00000000C72C: 7E8402FA FF0118F9
	v_mov_b32_dpp v67, v249 row_shl:8 row_mask:0xf bank_mask:0xf// 00000000C734: 7E8602FA FF0108F9
	v_mov_b32_e32 v68, v248                                    // 00000000C73C: 7E8803F8
	v_mov_b32_e32 v69, v249                                    // 00000000C740: 7E8A03F9
	v_cndmask_b32_e64 v248, v68, v64, s[42:43]                 // 00000000C744: D10000F8 00AA8144
	v_cndmask_b32_e64 v250, v68, v65, s[78:79]                 // 00000000C74C: D10000FA 013A8344
	v_cndmask_b32_e64 v249, v69, v66, s[42:43]                 // 00000000C754: D10000F9 00AA8545
	v_cndmask_b32_e64 v251, v69, v67, s[78:79]                 // 00000000C75C: D10000FB 013A8745
	v_mov_b32_dpp v64, v58 row_shr:4 row_mask:0xf bank_mask:0xf// 00000000C764: 7E8002FA FF01143A
	v_mov_b32_dpp v65, v58 row_shl:4 row_mask:0xf bank_mask:0xf// 00000000C76C: 7E8202FA FF01043A
	v_cndmask_b32_e64 v252, v58, v64, s[44:45]                 // 00000000C774: D10000FC 00B2813A
	v_cndmask_b32_e64 v253, v65, v58, s[44:45]                 // 00000000C77C: D10000FD 00B27541
	v_mov_b32_dpp v64, v252 row_shr:8 row_mask:0xf bank_mask:0xf// 00000000C784: 7E8002FA FF0118FC
	v_mov_b32_dpp v65, v252 row_shl:8 row_mask:0xf bank_mask:0xf// 00000000C78C: 7E8202FA FF0108FC
	v_mov_b32_dpp v66, v253 row_shr:8 row_mask:0xf bank_mask:0xf// 00000000C794: 7E8402FA FF0118FD
	v_mov_b32_dpp v67, v253 row_shl:8 row_mask:0xf bank_mask:0xf// 00000000C79C: 7E8602FA FF0108FD
	v_mov_b32_e32 v68, v252                                    // 00000000C7A4: 7E8803FC
	v_mov_b32_e32 v69, v253                                    // 00000000C7A8: 7E8A03FD
	v_cndmask_b32_e64 v252, v68, v64, s[42:43]                 // 00000000C7AC: D10000FC 00AA8144
	v_cndmask_b32_e64 v254, v68, v65, s[78:79]                 // 00000000C7B4: D10000FE 013A8344
	v_cndmask_b32_e64 v253, v69, v66, s[42:43]                 // 00000000C7BC: D10000FD 00AA8545
	v_cndmask_b32_e64 v255, v69, v67, s[78:79]                 // 00000000C7C4: D10000FF 013A8745
	v_mul_f32_e32 v112, v18, v112                              // 00000000C7CC: 0AE0E112
	v_mul_f32_e32 v113, v18, v113                              // 00000000C7D0: 0AE2E312
	v_mul_f32_e32 v114, v18, v114                              // 00000000C7D4: 0AE4E512
	v_mul_f32_e32 v115, v18, v115                              // 00000000C7D8: 0AE6E712
	v_mul_f32_e32 v116, v18, v116                              // 00000000C7DC: 0AE8E912
	v_mul_f32_e32 v117, v18, v117                              // 00000000C7E0: 0AEAEB12
	v_mul_f32_e32 v118, v18, v118                              // 00000000C7E4: 0AECED12
	v_mul_f32_e32 v119, v18, v119                              // 00000000C7E8: 0AEEEF12
	v_mul_f32_e32 v120, v18, v120                              // 00000000C7EC: 0AF0F112
	v_mul_f32_e32 v121, v18, v121                              // 00000000C7F0: 0AF2F312
	v_mul_f32_e32 v122, v18, v122                              // 00000000C7F4: 0AF4F512
	v_mul_f32_e32 v123, v18, v123                              // 00000000C7F8: 0AF6F712
	v_mul_f32_e32 v124, v18, v124                              // 00000000C7FC: 0AF8F912
	v_mul_f32_e32 v125, v18, v125                              // 00000000C800: 0AFAFB12
	v_mul_f32_e32 v126, v18, v126                              // 00000000C804: 0AFCFD12
	v_mul_f32_e32 v127, v18, v127                              // 00000000C808: 0AFEFF12
	v_mul_f32_dpp v112, v248, v112 quad_perm:[0,0,0,0] row_mask:0xf bank_mask:0xf// 00000000C80C: 0AE0E0FA FF0000F8
	v_mul_f32_dpp v113, v248, v113 quad_perm:[1,1,1,1] row_mask:0xf bank_mask:0xf// 00000000C814: 0AE2E2FA FF0055F8
	v_mul_f32_dpp v114, v248, v114 quad_perm:[2,2,2,2] row_mask:0xf bank_mask:0xf// 00000000C81C: 0AE4E4FA FF00AAF8
	v_mul_f32_dpp v115, v248, v115 quad_perm:[3,3,3,3] row_mask:0xf bank_mask:0xf// 00000000C824: 0AE6E6FA FF00FFF8
	v_mul_f32_dpp v116, v249, v116 quad_perm:[0,0,0,0] row_mask:0xf bank_mask:0xf// 00000000C82C: 0AE8E8FA FF0000F9
	v_mul_f32_dpp v117, v249, v117 quad_perm:[1,1,1,1] row_mask:0xf bank_mask:0xf// 00000000C834: 0AEAEAFA FF0055F9
	v_mul_f32_dpp v118, v249, v118 quad_perm:[2,2,2,2] row_mask:0xf bank_mask:0xf// 00000000C83C: 0AECECFA FF00AAF9
	v_mul_f32_dpp v119, v249, v119 quad_perm:[3,3,3,3] row_mask:0xf bank_mask:0xf// 00000000C844: 0AEEEEFA FF00FFF9
	v_mul_f32_dpp v120, v250, v120 quad_perm:[0,0,0,0] row_mask:0xf bank_mask:0xf// 00000000C84C: 0AF0F0FA FF0000FA
	v_mul_f32_dpp v121, v250, v121 quad_perm:[1,1,1,1] row_mask:0xf bank_mask:0xf// 00000000C854: 0AF2F2FA FF0055FA
	v_mul_f32_dpp v122, v250, v122 quad_perm:[2,2,2,2] row_mask:0xf bank_mask:0xf// 00000000C85C: 0AF4F4FA FF00AAFA
	v_mul_f32_dpp v123, v250, v123 quad_perm:[3,3,3,3] row_mask:0xf bank_mask:0xf// 00000000C864: 0AF6F6FA FF00FFFA
	v_mul_f32_dpp v124, v251, v124 quad_perm:[0,0,0,0] row_mask:0xf bank_mask:0xf// 00000000C86C: 0AF8F8FA FF0000FB
	v_mul_f32_dpp v125, v251, v125 quad_perm:[1,1,1,1] row_mask:0xf bank_mask:0xf// 00000000C874: 0AFAFAFA FF0055FB
	v_mul_f32_dpp v126, v251, v126 quad_perm:[2,2,2,2] row_mask:0xf bank_mask:0xf// 00000000C87C: 0AFCFCFA FF00AAFB
	v_mul_f32_dpp v127, v251, v127 quad_perm:[3,3,3,3] row_mask:0xf bank_mask:0xf// 00000000C884: 0AFEFEFA FF00FFFB
	s_and_b32 s60, s72, 0xff                                   // 00000000C88C: 863CFF48 000000FF
	v_mov_b32_e32 v65, s60                                     // 00000000C894: 7E82023C
	v_lshrrev_b32_e32 v240, 4, v0                              // 00000000C898: 21E00084
	v_mul_i32_i24_e32 v240, 4, v240                            // 00000000C89C: 0DE1E084
	s_mul_i32 s60, s7, 16                                      // 00000000C8A0: 923C9007
	v_add_u32_e32 v240, s60, v240                              // 00000000C8A4: 69E1E03C
	v_add_u32_e32 v241, 1, v240                                // 00000000C8A8: 69E3E081
	v_add_u32_e32 v242, 2, v240                                // 00000000C8AC: 69E5E082
	v_add_u32_e32 v243, 3, v240                                // 00000000C8B0: 69E7E083
	v_mov_b32_e32 v64, 0xff800000                              // 00000000C8B4: 7E8002FF FF800000
	v_cmp_lt_u32_e64 s[40:41], v240, v65                       // 00000000C8BC: D0C90028 000283F0
	v_add_u32_e32 v240, 64, v240                               // 00000000C8C4: 69E1E0C0
	s_nop 0                                                    // 00000000C8C8: BF800000
	v_cndmask_b32_e64 v112, v64, v112, s[40:41]                // 00000000C8CC: D1000070 00A2E140
	v_cmp_lt_u32_e64 s[40:41], v241, v65                       // 00000000C8D4: D0C90028 000283F1
	v_add_u32_e32 v241, 64, v241                               // 00000000C8DC: 69E3E2C0
	s_nop 0                                                    // 00000000C8E0: BF800000
	v_cndmask_b32_e64 v113, v64, v113, s[40:41]                // 00000000C8E4: D1000071 00A2E340
	v_cmp_lt_u32_e64 s[40:41], v242, v65                       // 00000000C8EC: D0C90028 000283F2
	v_add_u32_e32 v242, 64, v242                               // 00000000C8F4: 69E5E4C0
	s_nop 0                                                    // 00000000C8F8: BF800000
	v_cndmask_b32_e64 v114, v64, v114, s[40:41]                // 00000000C8FC: D1000072 00A2E540
	v_cmp_lt_u32_e64 s[40:41], v243, v65                       // 00000000C904: D0C90028 000283F3
	v_add_u32_e32 v243, 64, v243                               // 00000000C90C: 69E7E6C0
	s_nop 0                                                    // 00000000C910: BF800000
	v_cndmask_b32_e64 v115, v64, v115, s[40:41]                // 00000000C914: D1000073 00A2E740
	v_cmp_lt_u32_e64 s[40:41], v240, v65                       // 00000000C91C: D0C90028 000283F0
	v_add_u32_e32 v240, 64, v240                               // 00000000C924: 69E1E0C0
	s_nop 0                                                    // 00000000C928: BF800000
	v_cndmask_b32_e64 v116, v64, v116, s[40:41]                // 00000000C92C: D1000074 00A2E940
	v_cmp_lt_u32_e64 s[40:41], v241, v65                       // 00000000C934: D0C90028 000283F1
	v_add_u32_e32 v241, 64, v241                               // 00000000C93C: 69E3E2C0
	s_nop 0                                                    // 00000000C940: BF800000
	v_cndmask_b32_e64 v117, v64, v117, s[40:41]                // 00000000C944: D1000075 00A2EB40
	v_cmp_lt_u32_e64 s[40:41], v242, v65                       // 00000000C94C: D0C90028 000283F2
	v_add_u32_e32 v242, 64, v242                               // 00000000C954: 69E5E4C0
	s_nop 0                                                    // 00000000C958: BF800000
	v_cndmask_b32_e64 v118, v64, v118, s[40:41]                // 00000000C95C: D1000076 00A2ED40
	v_cmp_lt_u32_e64 s[40:41], v243, v65                       // 00000000C964: D0C90028 000283F3
	v_add_u32_e32 v243, 64, v243                               // 00000000C96C: 69E7E6C0
	s_nop 0                                                    // 00000000C970: BF800000
	v_cndmask_b32_e64 v119, v64, v119, s[40:41]                // 00000000C974: D1000077 00A2EF40
	v_cmp_lt_u32_e64 s[40:41], v240, v65                       // 00000000C97C: D0C90028 000283F0
	v_add_u32_e32 v240, 64, v240                               // 00000000C984: 69E1E0C0
	s_nop 0                                                    // 00000000C988: BF800000
	v_cndmask_b32_e64 v120, v64, v120, s[40:41]                // 00000000C98C: D1000078 00A2F140
	v_cmp_lt_u32_e64 s[40:41], v241, v65                       // 00000000C994: D0C90028 000283F1
	v_add_u32_e32 v241, 64, v241                               // 00000000C99C: 69E3E2C0
	s_nop 0                                                    // 00000000C9A0: BF800000
	v_cndmask_b32_e64 v121, v64, v121, s[40:41]                // 00000000C9A4: D1000079 00A2F340
	v_cmp_lt_u32_e64 s[40:41], v242, v65                       // 00000000C9AC: D0C90028 000283F2
	v_add_u32_e32 v242, 64, v242                               // 00000000C9B4: 69E5E4C0
	s_nop 0                                                    // 00000000C9B8: BF800000
	v_cndmask_b32_e64 v122, v64, v122, s[40:41]                // 00000000C9BC: D100007A 00A2F540
	v_cmp_lt_u32_e64 s[40:41], v243, v65                       // 00000000C9C4: D0C90028 000283F3
	v_add_u32_e32 v243, 64, v243                               // 00000000C9CC: 69E7E6C0
	s_nop 0                                                    // 00000000C9D0: BF800000
	v_cndmask_b32_e64 v123, v64, v123, s[40:41]                // 00000000C9D4: D100007B 00A2F740
	v_cmp_lt_u32_e64 s[40:41], v240, v65                       // 00000000C9DC: D0C90028 000283F0
	v_add_u32_e32 v240, 64, v240                               // 00000000C9E4: 69E1E0C0
	s_nop 0                                                    // 00000000C9E8: BF800000
	v_cndmask_b32_e64 v124, v64, v124, s[40:41]                // 00000000C9EC: D100007C 00A2F940
	v_cmp_lt_u32_e64 s[40:41], v241, v65                       // 00000000C9F4: D0C90028 000283F1
	v_add_u32_e32 v241, 64, v241                               // 00000000C9FC: 69E3E2C0
	s_nop 0                                                    // 00000000CA00: BF800000
	v_cndmask_b32_e64 v125, v64, v125, s[40:41]                // 00000000CA04: D100007D 00A2FB40
	v_cmp_lt_u32_e64 s[40:41], v242, v65                       // 00000000CA0C: D0C90028 000283F2
	v_add_u32_e32 v242, 64, v242                               // 00000000CA14: 69E5E4C0
	s_nop 0                                                    // 00000000CA18: BF800000
	v_cndmask_b32_e64 v126, v64, v126, s[40:41]                // 00000000CA1C: D100007E 00A2FD40
	v_cmp_lt_u32_e64 s[40:41], v243, v65                       // 00000000CA24: D0C90028 000283F3
	v_add_u32_e32 v243, 64, v243                               // 00000000CA2C: 69E7E6C0
	s_nop 0                                                    // 00000000CA30: BF800000
	v_cndmask_b32_e64 v127, v64, v127, s[40:41]                // 00000000CA34: D100007F 00A2FF40
	v_mov_b32_e32 v48, v112                                    // 00000000CA3C: 7E600370
	v_max3_f32 v48, v112, v113, v48                            // 00000000CA40: D1D30030 04C2E370
	v_max3_f32 v48, v114, v115, v48                            // 00000000CA48: D1D30030 04C2E772
	v_max3_f32 v48, v116, v117, v48                            // 00000000CA50: D1D30030 04C2EB74
	v_max3_f32 v48, v118, v119, v48                            // 00000000CA58: D1D30030 04C2EF76
	v_max3_f32 v48, v120, v121, v48                            // 00000000CA60: D1D30030 04C2F378
	v_max3_f32 v48, v122, v123, v48                            // 00000000CA68: D1D30030 04C2F77A
	v_max3_f32 v48, v124, v125, v48                            // 00000000CA70: D1D30030 04C2FB7C
	v_max3_f32 v48, v126, v127, v48                            // 00000000CA78: D1D30030 04C2FF7E
	ds_write_b32 v8, v48 offset:16896                          // 00000000CA80: D81A4200 00003008
	v_mul_u32_u24_dpp v64, v16, v54 row_newbcast:1 row_mask:0xf bank_mask:0xf// 00000000CA88: 10806CFA FF015110
	v_mul_u32_u24_dpp v65, v16, v54 row_newbcast:5 row_mask:0xf bank_mask:0xf// 00000000CA90: 10826CFA FF015510
	v_mul_u32_u24_dpp v66, v16, v54 row_newbcast:9 row_mask:0xf bank_mask:0xf// 00000000CA98: 10846CFA FF015910
	v_mul_u32_u24_dpp v67, v16, v54 row_newbcast:13 row_mask:0xf bank_mask:0xf// 00000000CAA0: 10866CFA FF015D10
	v_add_u32_e32 v30, v64, v6                                 // 00000000CAA8: 683C0D40
	v_add_u32_e32 v31, v65, v6                                 // 00000000CAAC: 683E0D41
	v_add_u32_e32 v32, v66, v6                                 // 00000000CAB0: 68400D42
	v_add_u32_e32 v33, v67, v6                                 // 00000000CAB4: 68420D43
	v_mul_f32_e32 v208, v49, v208                              // 00000000CAB8: 0BA1A131
	v_mul_f32_e32 v209, v49, v209                              // 00000000CABC: 0BA3A331
	v_mul_f32_e32 v210, v49, v210                              // 00000000CAC0: 0BA5A531
	v_mul_f32_e32 v211, v49, v211                              // 00000000CAC4: 0BA7A731
	v_mul_f32_e32 v212, v49, v212                              // 00000000CAC8: 0BA9A931
	v_mul_f32_e32 v213, v49, v213                              // 00000000CACC: 0BABAB31
	v_mul_f32_e32 v214, v49, v214                              // 00000000CAD0: 0BADAD31
	v_mul_f32_e32 v215, v49, v215                              // 00000000CAD4: 0BAFAF31
	s_waitcnt lgkmcnt(0)                                       // 00000000CAD8: BF8CC07F
	s_barrier                                                  // 00000000CADC: BF8A0000
	ds_read_b32 v64, v7 offset:16896                           // 00000000CAE0: D86C4200 40000007
	ds_read_b32 v65, v7 offset:16960                           // 00000000CAE8: D86C4240 41000007
	ds_read_b32 v66, v7 offset:17024                           // 00000000CAF0: D86C4280 42000007
	ds_read_b32 v67, v7 offset:17088                           // 00000000CAF8: D86C42C0 43000007
	ds_read_b32 v68, v7 offset:17152                           // 00000000CB00: D86C4300 44000007
	ds_read_b32 v69, v7 offset:17216                           // 00000000CB08: D86C4340 45000007
	ds_read_b32 v70, v7 offset:17280                           // 00000000CB10: D86C4380 46000007
	ds_read_b32 v71, v7 offset:17344                           // 00000000CB18: D86C43C0 47000007
	ds_read_b32 v72, v7 offset:17408                           // 00000000CB20: D86C4400 48000007
	ds_read_b32 v73, v7 offset:17472                           // 00000000CB28: D86C4440 49000007
	ds_read_b32 v74, v7 offset:17536                           // 00000000CB30: D86C4480 4A000007
	ds_read_b32 v75, v7 offset:17600                           // 00000000CB38: D86C44C0 4B000007
	ds_read_b32 v76, v7 offset:17664                           // 00000000CB40: D86C4500 4C000007
	ds_read_b32 v77, v7 offset:17728                           // 00000000CB48: D86C4540 4D000007
	ds_read_b32 v78, v7 offset:17792                           // 00000000CB50: D86C4580 4E000007
	ds_read_b32 v79, v7 offset:17856                           // 00000000CB58: D86C45C0 4F000007
	v_mul_f32_e32 v176, v44, v176                              // 00000000CB60: 0B61612C
	v_mul_f32_e32 v177, v44, v177                              // 00000000CB64: 0B63632C
	v_mul_f32_e32 v178, v44, v178                              // 00000000CB68: 0B65652C
	v_mul_f32_e32 v179, v44, v179                              // 00000000CB6C: 0B67672C
	v_mul_f32_e32 v180, v44, v180                              // 00000000CB70: 0B69692C
	v_mul_f32_e32 v181, v44, v181                              // 00000000CB74: 0B6B6B2C
	v_mul_f32_e32 v182, v44, v182                              // 00000000CB78: 0B6D6D2C
	v_mul_f32_e32 v183, v44, v183                              // 00000000CB7C: 0B6F6F2C
	s_waitcnt lgkmcnt(0)                                       // 00000000CB80: BF8CC07F
	v_max3_f32 v48, v64, v65, v48                              // 00000000CB84: D1D30030 04C28340
	v_max3_f32 v48, v66, v67, v48                              // 00000000CB8C: D1D30030 04C28742
	v_max3_f32 v48, v68, v69, v48                              // 00000000CB94: D1D30030 04C28B44
	v_max3_f32 v48, v70, v71, v48                              // 00000000CB9C: D1D30030 04C28F46
	v_max3_f32 v48, v72, v73, v48                              // 00000000CBA4: D1D30030 04C29348
	v_max3_f32 v48, v74, v75, v48                              // 00000000CBAC: D1D30030 04C2974A
	v_max3_f32 v48, v76, v77, v48                              // 00000000CBB4: D1D30030 04C29B4C
	v_max3_f32 v48, v78, v79, v48                              // 00000000CBBC: D1D30030 04C29F4E
	v_mov_b32_e32 v64, 0xff800000                              // 00000000CBC4: 7E8002FF FF800000
	v_cmp_eq_u32_e64 s[40:41], v64, v11                        // 00000000CBCC: D0CA0028 00021740
	s_nop 1                                                    // 00000000CBD4: BF800001
	v_max_f32_e32 v15, v48, v11                                // 00000000CBD8: 161E1730
	v_mul_f32_e32 v53, s64, v15                                // 00000000CBDC: 0A6A1E40
	v_fma_f32 v112, v112, s64, -v53                            // 00000000CBE0: D1CB0070 84D48170
	v_fma_f32 v113, v113, s64, -v53                            // 00000000CBE8: D1CB0071 84D48171
	v_fma_f32 v114, v114, s64, -v53                            // 00000000CBF0: D1CB0072 84D48172
	v_fma_f32 v115, v115, s64, -v53                            // 00000000CBF8: D1CB0073 84D48173
	v_fma_f32 v116, v116, s64, -v53                            // 00000000CC00: D1CB0074 84D48174
	v_fma_f32 v117, v117, s64, -v53                            // 00000000CC08: D1CB0075 84D48175
	v_fma_f32 v118, v118, s64, -v53                            // 00000000CC10: D1CB0076 84D48176
	v_fma_f32 v119, v119, s64, -v53                            // 00000000CC18: D1CB0077 84D48177
	v_fma_f32 v120, v120, s64, -v53                            // 00000000CC20: D1CB0078 84D48178
	v_fma_f32 v121, v121, s64, -v53                            // 00000000CC28: D1CB0079 84D48179
	v_fma_f32 v122, v122, s64, -v53                            // 00000000CC30: D1CB007A 84D4817A
	v_fma_f32 v123, v123, s64, -v53                            // 00000000CC38: D1CB007B 84D4817B
	v_fma_f32 v124, v124, s64, -v53                            // 00000000CC40: D1CB007C 84D4817C
	v_fma_f32 v125, v125, s64, -v53                            // 00000000CC48: D1CB007D 84D4817D
	v_fma_f32 v126, v126, s64, -v53                            // 00000000CC50: D1CB007E 84D4817E
	v_fma_f32 v127, v127, s64, -v53                            // 00000000CC58: D1CB007F 84D4817F
	v_exp_f32_e32 v112, v112                                   // 00000000CC60: 7EE04170
	v_exp_f32_e32 v113, v113                                   // 00000000CC64: 7EE24171
	v_exp_f32_e32 v114, v114                                   // 00000000CC68: 7EE44172
	v_exp_f32_e32 v115, v115                                   // 00000000CC6C: 7EE64173
	v_exp_f32_e32 v116, v116                                   // 00000000CC70: 7EE84174
	v_exp_f32_e32 v117, v117                                   // 00000000CC74: 7EEA4175
	v_exp_f32_e32 v118, v118                                   // 00000000CC78: 7EEC4176
	v_exp_f32_e32 v119, v119                                   // 00000000CC7C: 7EEE4177
	v_exp_f32_e32 v120, v120                                   // 00000000CC80: 7EF04178
	v_exp_f32_e32 v121, v121                                   // 00000000CC84: 7EF24179
	v_exp_f32_e32 v122, v122                                   // 00000000CC88: 7EF4417A
	v_exp_f32_e32 v123, v123                                   // 00000000CC8C: 7EF6417B
	v_exp_f32_e32 v124, v124                                   // 00000000CC90: 7EF8417C
	v_exp_f32_e32 v125, v125                                   // 00000000CC94: 7EFA417D
	v_exp_f32_e32 v126, v126                                   // 00000000CC98: 7EFC417E
	v_exp_f32_e32 v127, v127                                   // 00000000CC9C: 7EFE417F
	v_mul_f32_dpp v240, v252, v112 quad_perm:[0,0,0,0] row_mask:0xf bank_mask:0xf// 00000000CCA0: 0BE0E0FA FF0000FC
	v_mul_f32_dpp v241, v252, v113 quad_perm:[1,1,1,1] row_mask:0xf bank_mask:0xf// 00000000CCA8: 0BE2E2FA FF0055FC
	v_mul_f32_dpp v242, v252, v114 quad_perm:[2,2,2,2] row_mask:0xf bank_mask:0xf// 00000000CCB0: 0BE4E4FA FF00AAFC
	v_mul_f32_dpp v243, v252, v115 quad_perm:[3,3,3,3] row_mask:0xf bank_mask:0xf// 00000000CCB8: 0BE6E6FA FF00FFFC
	v_mul_f32_dpp v244, v253, v116 quad_perm:[0,0,0,0] row_mask:0xf bank_mask:0xf// 00000000CCC0: 0BE8E8FA FF0000FD
	v_mul_f32_dpp v245, v253, v117 quad_perm:[1,1,1,1] row_mask:0xf bank_mask:0xf// 00000000CCC8: 0BEAEAFA FF0055FD
	v_mul_f32_dpp v246, v253, v118 quad_perm:[2,2,2,2] row_mask:0xf bank_mask:0xf// 00000000CCD0: 0BECECFA FF00AAFD
	v_mul_f32_dpp v247, v253, v119 quad_perm:[3,3,3,3] row_mask:0xf bank_mask:0xf// 00000000CCD8: 0BEEEEFA FF00FFFD
	v_mul_f32_dpp v248, v254, v120 quad_perm:[0,0,0,0] row_mask:0xf bank_mask:0xf// 00000000CCE0: 0BF0F0FA FF0000FE
	v_mul_f32_dpp v249, v254, v121 quad_perm:[1,1,1,1] row_mask:0xf bank_mask:0xf// 00000000CCE8: 0BF2F2FA FF0055FE
	v_mul_f32_dpp v250, v254, v122 quad_perm:[2,2,2,2] row_mask:0xf bank_mask:0xf// 00000000CCF0: 0BF4F4FA FF00AAFE
	v_mul_f32_dpp v251, v254, v123 quad_perm:[3,3,3,3] row_mask:0xf bank_mask:0xf// 00000000CCF8: 0BF6F6FA FF00FFFE
	v_mul_f32_dpp v252, v255, v124 quad_perm:[0,0,0,0] row_mask:0xf bank_mask:0xf// 00000000CD00: 0BF8F8FA FF0000FF
	v_mul_f32_dpp v253, v255, v125 quad_perm:[1,1,1,1] row_mask:0xf bank_mask:0xf// 00000000CD08: 0BFAFAFA FF0055FF
	v_mul_f32_dpp v254, v255, v126 quad_perm:[2,2,2,2] row_mask:0xf bank_mask:0xf// 00000000CD10: 0BFCFCFA FF00AAFF
	v_mul_f32_dpp v255, v255, v127 quad_perm:[3,3,3,3] row_mask:0xf bank_mask:0xf// 00000000CD18: 0BFEFEFA FF00FFFF
	v_mov_b32_e32 v48, 0x358637bd                              // 00000000CD20: 7E6002FF 358637BD
	v_max3_f32 v48, |v240|, |v241|, v48                        // 00000000CD28: D1D30330 04C3E3F0
	v_max3_f32 v48, |v242|, |v243|, v48                        // 00000000CD30: D1D30330 04C3E7F2
	v_max3_f32 v48, |v244|, |v245|, v48                        // 00000000CD38: D1D30330 04C3EBF4
	v_max3_f32 v48, |v246|, |v247|, v48                        // 00000000CD40: D1D30330 04C3EFF6
	v_max3_f32 v48, |v248|, |v249|, v48                        // 00000000CD48: D1D30330 04C3F3F8
	v_max3_f32 v48, |v250|, |v251|, v48                        // 00000000CD50: D1D30330 04C3F7FA
	v_max3_f32 v48, |v252|, |v253|, v48                        // 00000000CD58: D1D30330 04C3FBFC
	v_max3_f32 v48, |v254|, |v255|, v48                        // 00000000CD60: D1D30330 04C3FFFE
	ds_write_b32 v8, v48 offset:20992                          // 00000000CD68: D81A5200 00003008
	v_sub_f32_e32 v49, v11, v15                                // 00000000CD70: 04621F0B
	v_cndmask_b32_e64 v49, v49, 0, s[40:41]                    // 00000000CD74: D1000031 00A10131
	v_mov_b32_e32 v11, v15                                     // 00000000CD7C: 7E16030F
	v_mul_f32_e32 v49, s64, v49                                // 00000000CD80: 0A626240
	v_exp_f32_e32 v49, v49                                     // 00000000CD84: 7E624131
	s_waitcnt lgkmcnt(0)                                       // 00000000CD88: BF8CC07F
	s_barrier                                                  // 00000000CD8C: BF8A0000
	ds_read_b32 v64, v7 offset:20992                           // 00000000CD90: D86C5200 40000007
	ds_read_b32 v65, v7 offset:21056                           // 00000000CD98: D86C5240 41000007
	ds_read_b32 v66, v7 offset:21120                           // 00000000CDA0: D86C5280 42000007
	ds_read_b32 v67, v7 offset:21184                           // 00000000CDA8: D86C52C0 43000007
	ds_read_b32 v68, v7 offset:21248                           // 00000000CDB0: D86C5300 44000007
	ds_read_b32 v69, v7 offset:21312                           // 00000000CDB8: D86C5340 45000007
	ds_read_b32 v70, v7 offset:21376                           // 00000000CDC0: D86C5380 46000007
	ds_read_b32 v71, v7 offset:21440                           // 00000000CDC8: D86C53C0 47000007
	ds_read_b32 v72, v7 offset:21504                           // 00000000CDD0: D86C5400 48000007
	ds_read_b32 v73, v7 offset:21568                           // 00000000CDD8: D86C5440 49000007
	ds_read_b32 v74, v7 offset:21632                           // 00000000CDE0: D86C5480 4A000007
	ds_read_b32 v75, v7 offset:21696                           // 00000000CDE8: D86C54C0 4B000007
	ds_read_b32 v76, v7 offset:21760                           // 00000000CDF0: D86C5500 4C000007
	ds_read_b32 v77, v7 offset:21824                           // 00000000CDF8: D86C5540 4D000007
	ds_read_b32 v78, v7 offset:21888                           // 00000000CE00: D86C5580 4E000007
	ds_read_b32 v79, v7 offset:21952                           // 00000000CE08: D86C55C0 4F000007
	v_mul_f32_e32 v38, v49, v38                                // 00000000CE10: 0A4C4D31
	v_mov_b32_e32 v15, v112                                    // 00000000CE14: 7E1E0370
	v_add_f32_e32 v15, v113, v15                               // 00000000CE18: 021E1F71
	v_add_f32_e32 v15, v114, v15                               // 00000000CE1C: 021E1F72
	v_add_f32_e32 v15, v115, v15                               // 00000000CE20: 021E1F73
	v_add_f32_e32 v15, v116, v15                               // 00000000CE24: 021E1F74
	v_add_f32_e32 v15, v117, v15                               // 00000000CE28: 021E1F75
	v_add_f32_e32 v15, v118, v15                               // 00000000CE2C: 021E1F76
	v_add_f32_e32 v15, v119, v15                               // 00000000CE30: 021E1F77
	v_add_f32_e32 v15, v120, v15                               // 00000000CE34: 021E1F78
	v_add_f32_e32 v15, v121, v15                               // 00000000CE38: 021E1F79
	v_add_f32_e32 v15, v122, v15                               // 00000000CE3C: 021E1F7A
	v_add_f32_e32 v15, v123, v15                               // 00000000CE40: 021E1F7B
	v_add_f32_e32 v15, v124, v15                               // 00000000CE44: 021E1F7C
	v_add_f32_e32 v15, v125, v15                               // 00000000CE48: 021E1F7D
	v_add_f32_e32 v15, v126, v15                               // 00000000CE4C: 021E1F7E
	v_add_f32_e32 v15, v127, v15                               // 00000000CE50: 021E1F7F
	v_add_f32_e32 v38, v15, v38                                // 00000000CE54: 024C4D0F
	s_waitcnt lgkmcnt(0)                                       // 00000000CE58: BF8CC07F
	v_max3_f32 v48, |v64|, |v65|, v48                          // 00000000CE5C: D1D30330 04C28340
	v_max3_f32 v48, |v66|, |v67|, v48                          // 00000000CE64: D1D30330 04C28742
	v_max3_f32 v48, |v68|, |v69|, v48                          // 00000000CE6C: D1D30330 04C28B44
	v_max3_f32 v48, |v70|, |v71|, v48                          // 00000000CE74: D1D30330 04C28F46
	v_max3_f32 v48, |v72|, |v73|, v48                          // 00000000CE7C: D1D30330 04C29348
	v_max3_f32 v48, |v74|, |v75|, v48                          // 00000000CE84: D1D30330 04C2974A
	v_max3_f32 v48, |v76|, |v77|, v48                          // 00000000CE8C: D1D30330 04C29B4C
	v_max3_f32 v48, |v78|, |v79|, v48                          // 00000000CE94: D1D30330 04C29F4E
	s_nop 2                                                    // 00000000CE9C: BF800002
	v_rcp_f32_e32 v48, v48                                     // 00000000CEA0: 7E604530
	s_nop 1                                                    // 00000000CEA4: BF800001
	v_mul_f32_e32 v48, 0x43e00000, v48                         // 00000000CEA8: 0A6060FF 43E00000
	v_mul_f32_e32 v112, v48, v240                              // 00000000CEB0: 0AE1E130
	v_mul_f32_e32 v113, v48, v241                              // 00000000CEB4: 0AE3E330
	v_mul_f32_e32 v114, v48, v242                              // 00000000CEB8: 0AE5E530
	v_mul_f32_e32 v115, v48, v243                              // 00000000CEBC: 0AE7E730
	v_mul_f32_e32 v116, v48, v244                              // 00000000CEC0: 0AE9E930
	v_mul_f32_e32 v117, v48, v245                              // 00000000CEC4: 0AEBEB30
	v_mul_f32_e32 v118, v48, v246                              // 00000000CEC8: 0AEDED30
	v_mul_f32_e32 v119, v48, v247                              // 00000000CECC: 0AEFEF30
	v_mul_f32_e32 v120, v48, v248                              // 00000000CED0: 0AF1F130
	v_mul_f32_e32 v121, v48, v249                              // 00000000CED4: 0AF3F330
	v_mul_f32_e32 v122, v48, v250                              // 00000000CED8: 0AF5F530
	v_mul_f32_e32 v123, v48, v251                              // 00000000CEDC: 0AF7F730
	v_mul_f32_e32 v124, v48, v252                              // 00000000CEE0: 0AF9F930
	v_mul_f32_e32 v125, v48, v253                              // 00000000CEE4: 0AFBFB30
	v_mul_f32_e32 v126, v48, v254                              // 00000000CEE8: 0AFDFD30
	v_mul_f32_e32 v127, v48, v255                              // 00000000CEEC: 0AFFFF30
	v_cvt_pk_fp8_f32 v112, v112, v113                          // 00000000CEF0: D2A20070 0002E370
	v_cvt_pk_fp8_f32 v112, v114, v115 op_sel:[0,0,1]           // 00000000CEF8: D2A24070 0002E772
	v_cvt_pk_fp8_f32 v113, v116, v117                          // 00000000CF00: D2A20071 0002EB74
	v_cvt_pk_fp8_f32 v113, v118, v119 op_sel:[0,0,1]           // 00000000CF08: D2A24071 0002EF76
	v_cvt_pk_fp8_f32 v114, v120, v121                          // 00000000CF10: D2A20072 0002F378
	v_cvt_pk_fp8_f32 v114, v122, v123 op_sel:[0,0,1]           // 00000000CF18: D2A24072 0002F77A
	v_cvt_pk_fp8_f32 v115, v124, v125                          // 00000000CF20: D2A20073 0002FB7C
	v_cvt_pk_fp8_f32 v115, v126, v127 op_sel:[0,0,1]           // 00000000CF28: D2A24073 0002FF7E
	ds_write_b32 v10, v112 offset:25088                        // 00000000CF30: D81A6200 0000700A
	ds_write_b32 v10, v113 offset:26112                        // 00000000CF38: D81A6600 0000710A
	ds_write_b32 v10, v114 offset:27136                        // 00000000CF40: D81A6A00 0000720A
	ds_write_b32 v10, v115 offset:28160                        // 00000000CF48: D81A6E00 0000730A
	v_add_f32_e32 v208, v208, v176                             // 00000000CF50: 03A161D0
	v_add_f32_e32 v209, v209, v177                             // 00000000CF54: 03A363D1
	v_add_f32_e32 v210, v210, v178                             // 00000000CF58: 03A565D2
	v_add_f32_e32 v211, v211, v179                             // 00000000CF5C: 03A767D3
	v_add_f32_e32 v212, v212, v180                             // 00000000CF60: 03A969D4
	v_add_f32_e32 v213, v213, v181                             // 00000000CF64: 03AB6BD5
	v_add_f32_e32 v214, v214, v182                             // 00000000CF68: 03AD6DD6
	v_add_f32_e32 v215, v215, v183                             // 00000000CF6C: 03AF6FD7
	v_rcp_f32_e32 v44, v48                                     // 00000000CF70: 7E584530
	s_waitcnt lgkmcnt(0)                                       // 00000000CF74: BF8CC07F
	s_barrier                                                  // 00000000CF78: BF8A0000
	ds_read_b64 v[112:113], v9 offset:25088                    // 00000000CF7C: D8EC6200 70000009
	ds_read_b64 v[114:115], v9 offset:25216                    // 00000000CF84: D8EC6280 72000009
	ds_read_b64 v[116:117], v9 offset:26112                    // 00000000CF8C: D8EC6600 74000009
	ds_read_b64 v[118:119], v9 offset:26240                    // 00000000CF94: D8EC6680 76000009
	ds_read_b64 v[120:121], v9 offset:27136                    // 00000000CF9C: D8EC6A00 78000009
	ds_read_b64 v[122:123], v9 offset:27264                    // 00000000CFA4: D8EC6A80 7A000009
	ds_read_b64 v[124:125], v9 offset:28160                    // 00000000CFAC: D8EC6E00 7C000009
	ds_read_b64 v[126:127], v9 offset:28288                    // 00000000CFB4: D8EC6E80 7E000009
	v_mov_b32_dpp v64, v43 row_shr:4 row_mask:0xf bank_mask:0xf// 00000000CFBC: 7E8002FA FF01142B
	v_mov_b32_dpp v65, v43 row_shl:4 row_mask:0xf bank_mask:0xf// 00000000CFC4: 7E8202FA FF01042B
	v_cndmask_b32_e64 v248, v43, v64, s[44:45]                 // 00000000CFCC: D10000F8 00B2812B
	v_cndmask_b32_e64 v249, v65, v43, s[44:45]                 // 00000000CFD4: D10000F9 00B25741
	v_mov_b32_dpp v64, v248 row_shr:8 row_mask:0xf bank_mask:0xf// 00000000CFDC: 7E8002FA FF0118F8
	v_mov_b32_dpp v65, v248 row_shl:8 row_mask:0xf bank_mask:0xf// 00000000CFE4: 7E8202FA FF0108F8
	v_mov_b32_dpp v66, v249 row_shr:8 row_mask:0xf bank_mask:0xf// 00000000CFEC: 7E8402FA FF0118F9
	v_mov_b32_dpp v67, v249 row_shl:8 row_mask:0xf bank_mask:0xf// 00000000CFF4: 7E8602FA FF0108F9
	v_mov_b32_e32 v68, v248                                    // 00000000CFFC: 7E8803F8
	v_mov_b32_e32 v69, v249                                    // 00000000D000: 7E8A03F9
	v_cndmask_b32_e64 v248, v68, v64, s[42:43]                 // 00000000D004: D10000F8 00AA8144
	v_cndmask_b32_e64 v250, v68, v65, s[78:79]                 // 00000000D00C: D10000FA 013A8344
	v_cndmask_b32_e64 v249, v69, v66, s[42:43]                 // 00000000D014: D10000F9 00AA8545
	v_cndmask_b32_e64 v251, v69, v67, s[78:79]                 // 00000000D01C: D10000FB 013A8745
	v_mov_b32_dpp v64, v58 row_shr:4 row_mask:0xf bank_mask:0xf// 00000000D024: 7E8002FA FF01143A
	v_mov_b32_dpp v65, v58 row_shl:4 row_mask:0xf bank_mask:0xf// 00000000D02C: 7E8202FA FF01043A
	v_cndmask_b32_e64 v252, v58, v64, s[44:45]                 // 00000000D034: D10000FC 00B2813A
	v_cndmask_b32_e64 v253, v65, v58, s[44:45]                 // 00000000D03C: D10000FD 00B27541
	v_mov_b32_dpp v64, v252 row_shr:8 row_mask:0xf bank_mask:0xf// 00000000D044: 7E8002FA FF0118FC
	v_mov_b32_dpp v65, v252 row_shl:8 row_mask:0xf bank_mask:0xf// 00000000D04C: 7E8202FA FF0108FC
	v_mov_b32_dpp v66, v253 row_shr:8 row_mask:0xf bank_mask:0xf// 00000000D054: 7E8402FA FF0118FD
	v_mov_b32_dpp v67, v253 row_shl:8 row_mask:0xf bank_mask:0xf// 00000000D05C: 7E8602FA FF0108FD
	v_mov_b32_e32 v68, v252                                    // 00000000D064: 7E8803FC
	v_mov_b32_e32 v69, v253                                    // 00000000D068: 7E8A03FD
	v_cndmask_b32_e64 v252, v68, v64, s[42:43]                 // 00000000D06C: D10000FC 00AA8144
	v_cndmask_b32_e64 v254, v68, v65, s[78:79]                 // 00000000D074: D10000FE 013A8344
	v_cndmask_b32_e64 v253, v69, v66, s[42:43]                 // 00000000D07C: D10000FD 00AA8545
	v_cndmask_b32_e64 v255, v69, v67, s[78:79]                 // 00000000D084: D10000FF 013A8745
	v_mul_f32_e32 v128, v19, v128                              // 00000000D08C: 0B010113
	v_mul_f32_e32 v129, v19, v129                              // 00000000D090: 0B030313
	v_mul_f32_e32 v130, v19, v130                              // 00000000D094: 0B050513
	v_mul_f32_e32 v131, v19, v131                              // 00000000D098: 0B070713
	v_mul_f32_e32 v132, v19, v132                              // 00000000D09C: 0B090913
	v_mul_f32_e32 v133, v19, v133                              // 00000000D0A0: 0B0B0B13
	v_mul_f32_e32 v134, v19, v134                              // 00000000D0A4: 0B0D0D13
	v_mul_f32_e32 v135, v19, v135                              // 00000000D0A8: 0B0F0F13
	v_mul_f32_e32 v136, v19, v136                              // 00000000D0AC: 0B111113
	v_mul_f32_e32 v137, v19, v137                              // 00000000D0B0: 0B131313
	v_mul_f32_e32 v138, v19, v138                              // 00000000D0B4: 0B151513
	v_mul_f32_e32 v139, v19, v139                              // 00000000D0B8: 0B171713
	v_mul_f32_e32 v140, v19, v140                              // 00000000D0BC: 0B191913
	v_mul_f32_e32 v141, v19, v141                              // 00000000D0C0: 0B1B1B13
	v_mul_f32_e32 v142, v19, v142                              // 00000000D0C4: 0B1D1D13
	v_mul_f32_e32 v143, v19, v143                              // 00000000D0C8: 0B1F1F13
	v_mul_f32_dpp v128, v248, v128 quad_perm:[0,0,0,0] row_mask:0xf bank_mask:0xf// 00000000D0CC: 0B0100FA FF0000F8
	v_mul_f32_dpp v129, v248, v129 quad_perm:[1,1,1,1] row_mask:0xf bank_mask:0xf// 00000000D0D4: 0B0302FA FF0055F8
	v_mul_f32_dpp v130, v248, v130 quad_perm:[2,2,2,2] row_mask:0xf bank_mask:0xf// 00000000D0DC: 0B0504FA FF00AAF8
	v_mul_f32_dpp v131, v248, v131 quad_perm:[3,3,3,3] row_mask:0xf bank_mask:0xf// 00000000D0E4: 0B0706FA FF00FFF8
	v_mul_f32_dpp v132, v249, v132 quad_perm:[0,0,0,0] row_mask:0xf bank_mask:0xf// 00000000D0EC: 0B0908FA FF0000F9
	v_mul_f32_dpp v133, v249, v133 quad_perm:[1,1,1,1] row_mask:0xf bank_mask:0xf// 00000000D0F4: 0B0B0AFA FF0055F9
	v_mul_f32_dpp v134, v249, v134 quad_perm:[2,2,2,2] row_mask:0xf bank_mask:0xf// 00000000D0FC: 0B0D0CFA FF00AAF9
	v_mul_f32_dpp v135, v249, v135 quad_perm:[3,3,3,3] row_mask:0xf bank_mask:0xf// 00000000D104: 0B0F0EFA FF00FFF9
	v_mul_f32_dpp v136, v250, v136 quad_perm:[0,0,0,0] row_mask:0xf bank_mask:0xf// 00000000D10C: 0B1110FA FF0000FA
	v_mul_f32_dpp v137, v250, v137 quad_perm:[1,1,1,1] row_mask:0xf bank_mask:0xf// 00000000D114: 0B1312FA FF0055FA
	v_mul_f32_dpp v138, v250, v138 quad_perm:[2,2,2,2] row_mask:0xf bank_mask:0xf// 00000000D11C: 0B1514FA FF00AAFA
	v_mul_f32_dpp v139, v250, v139 quad_perm:[3,3,3,3] row_mask:0xf bank_mask:0xf// 00000000D124: 0B1716FA FF00FFFA
	v_mul_f32_dpp v140, v251, v140 quad_perm:[0,0,0,0] row_mask:0xf bank_mask:0xf// 00000000D12C: 0B1918FA FF0000FB
	v_mul_f32_dpp v141, v251, v141 quad_perm:[1,1,1,1] row_mask:0xf bank_mask:0xf// 00000000D134: 0B1B1AFA FF0055FB
	v_mul_f32_dpp v142, v251, v142 quad_perm:[2,2,2,2] row_mask:0xf bank_mask:0xf// 00000000D13C: 0B1D1CFA FF00AAFB
	v_mul_f32_dpp v143, v251, v143 quad_perm:[3,3,3,3] row_mask:0xf bank_mask:0xf// 00000000D144: 0B1F1EFA FF00FFFB
	s_and_b32 s60, s72, 0xff                                   // 00000000D14C: 863CFF48 000000FF
	v_mov_b32_e32 v65, s60                                     // 00000000D154: 7E82023C
	v_lshrrev_b32_e32 v240, 4, v0                              // 00000000D158: 21E00084
	v_mul_i32_i24_e32 v240, 4, v240                            // 00000000D15C: 0DE1E084
	s_mul_i32 s60, s7, 16                                      // 00000000D160: 923C9007
	v_add_u32_e32 v240, s60, v240                              // 00000000D164: 69E1E03C
	v_add_u32_e32 v241, 1, v240                                // 00000000D168: 69E3E081
	v_add_u32_e32 v242, 2, v240                                // 00000000D16C: 69E5E082
	v_add_u32_e32 v243, 3, v240                                // 00000000D170: 69E7E083
	v_mov_b32_e32 v64, 0xff800000                              // 00000000D174: 7E8002FF FF800000
	v_cmp_lt_u32_e64 s[40:41], v240, v65                       // 00000000D17C: D0C90028 000283F0
	v_add_u32_e32 v240, 64, v240                               // 00000000D184: 69E1E0C0
	s_nop 0                                                    // 00000000D188: BF800000
	v_cndmask_b32_e64 v128, v64, v128, s[40:41]                // 00000000D18C: D1000080 00A30140
	v_cmp_lt_u32_e64 s[40:41], v241, v65                       // 00000000D194: D0C90028 000283F1
	v_add_u32_e32 v241, 64, v241                               // 00000000D19C: 69E3E2C0
	s_nop 0                                                    // 00000000D1A0: BF800000
	v_cndmask_b32_e64 v129, v64, v129, s[40:41]                // 00000000D1A4: D1000081 00A30340
	v_cmp_lt_u32_e64 s[40:41], v242, v65                       // 00000000D1AC: D0C90028 000283F2
	v_add_u32_e32 v242, 64, v242                               // 00000000D1B4: 69E5E4C0
	s_nop 0                                                    // 00000000D1B8: BF800000
	v_cndmask_b32_e64 v130, v64, v130, s[40:41]                // 00000000D1BC: D1000082 00A30540
	v_cmp_lt_u32_e64 s[40:41], v243, v65                       // 00000000D1C4: D0C90028 000283F3
	v_add_u32_e32 v243, 64, v243                               // 00000000D1CC: 69E7E6C0
	s_nop 0                                                    // 00000000D1D0: BF800000
	v_cndmask_b32_e64 v131, v64, v131, s[40:41]                // 00000000D1D4: D1000083 00A30740
	v_cmp_lt_u32_e64 s[40:41], v240, v65                       // 00000000D1DC: D0C90028 000283F0
	v_add_u32_e32 v240, 64, v240                               // 00000000D1E4: 69E1E0C0
	s_nop 0                                                    // 00000000D1E8: BF800000
	v_cndmask_b32_e64 v132, v64, v132, s[40:41]                // 00000000D1EC: D1000084 00A30940
	v_cmp_lt_u32_e64 s[40:41], v241, v65                       // 00000000D1F4: D0C90028 000283F1
	v_add_u32_e32 v241, 64, v241                               // 00000000D1FC: 69E3E2C0
	s_nop 0                                                    // 00000000D200: BF800000
	v_cndmask_b32_e64 v133, v64, v133, s[40:41]                // 00000000D204: D1000085 00A30B40
	v_cmp_lt_u32_e64 s[40:41], v242, v65                       // 00000000D20C: D0C90028 000283F2
	v_add_u32_e32 v242, 64, v242                               // 00000000D214: 69E5E4C0
	s_nop 0                                                    // 00000000D218: BF800000
	v_cndmask_b32_e64 v134, v64, v134, s[40:41]                // 00000000D21C: D1000086 00A30D40
	v_cmp_lt_u32_e64 s[40:41], v243, v65                       // 00000000D224: D0C90028 000283F3
	v_add_u32_e32 v243, 64, v243                               // 00000000D22C: 69E7E6C0
	s_nop 0                                                    // 00000000D230: BF800000
	v_cndmask_b32_e64 v135, v64, v135, s[40:41]                // 00000000D234: D1000087 00A30F40
	v_cmp_lt_u32_e64 s[40:41], v240, v65                       // 00000000D23C: D0C90028 000283F0
	v_add_u32_e32 v240, 64, v240                               // 00000000D244: 69E1E0C0
	s_nop 0                                                    // 00000000D248: BF800000
	v_cndmask_b32_e64 v136, v64, v136, s[40:41]                // 00000000D24C: D1000088 00A31140
	v_cmp_lt_u32_e64 s[40:41], v241, v65                       // 00000000D254: D0C90028 000283F1
	v_add_u32_e32 v241, 64, v241                               // 00000000D25C: 69E3E2C0
	s_nop 0                                                    // 00000000D260: BF800000
	v_cndmask_b32_e64 v137, v64, v137, s[40:41]                // 00000000D264: D1000089 00A31340
	v_cmp_lt_u32_e64 s[40:41], v242, v65                       // 00000000D26C: D0C90028 000283F2
	v_add_u32_e32 v242, 64, v242                               // 00000000D274: 69E5E4C0
	s_nop 0                                                    // 00000000D278: BF800000
	v_cndmask_b32_e64 v138, v64, v138, s[40:41]                // 00000000D27C: D100008A 00A31540
	v_cmp_lt_u32_e64 s[40:41], v243, v65                       // 00000000D284: D0C90028 000283F3
	v_add_u32_e32 v243, 64, v243                               // 00000000D28C: 69E7E6C0
	s_nop 0                                                    // 00000000D290: BF800000
	v_cndmask_b32_e64 v139, v64, v139, s[40:41]                // 00000000D294: D100008B 00A31740
	v_cmp_lt_u32_e64 s[40:41], v240, v65                       // 00000000D29C: D0C90028 000283F0
	v_add_u32_e32 v240, 64, v240                               // 00000000D2A4: 69E1E0C0
	s_nop 0                                                    // 00000000D2A8: BF800000
	v_cndmask_b32_e64 v140, v64, v140, s[40:41]                // 00000000D2AC: D100008C 00A31940
	v_cmp_lt_u32_e64 s[40:41], v241, v65                       // 00000000D2B4: D0C90028 000283F1
	v_add_u32_e32 v241, 64, v241                               // 00000000D2BC: 69E3E2C0
	s_nop 0                                                    // 00000000D2C0: BF800000
	v_cndmask_b32_e64 v141, v64, v141, s[40:41]                // 00000000D2C4: D100008D 00A31B40
	v_cmp_lt_u32_e64 s[40:41], v242, v65                       // 00000000D2CC: D0C90028 000283F2
	v_add_u32_e32 v242, 64, v242                               // 00000000D2D4: 69E5E4C0
	s_nop 0                                                    // 00000000D2D8: BF800000
	v_cndmask_b32_e64 v142, v64, v142, s[40:41]                // 00000000D2DC: D100008E 00A31D40
	v_cmp_lt_u32_e64 s[40:41], v243, v65                       // 00000000D2E4: D0C90028 000283F3
	v_add_u32_e32 v243, 64, v243                               // 00000000D2EC: 69E7E6C0
	s_nop 0                                                    // 00000000D2F0: BF800000
	v_cndmask_b32_e64 v143, v64, v143, s[40:41]                // 00000000D2F4: D100008F 00A31F40
	v_mov_b32_e32 v48, v128                                    // 00000000D2FC: 7E600380
	v_max3_f32 v48, v128, v129, v48                            // 00000000D300: D1D30030 04C30380
	v_max3_f32 v48, v130, v131, v48                            // 00000000D308: D1D30030 04C30782
	v_max3_f32 v48, v132, v133, v48                            // 00000000D310: D1D30030 04C30B84
	v_max3_f32 v48, v134, v135, v48                            // 00000000D318: D1D30030 04C30F86
	v_max3_f32 v48, v136, v137, v48                            // 00000000D320: D1D30030 04C31388
	v_max3_f32 v48, v138, v139, v48                            // 00000000D328: D1D30030 04C3178A
	v_max3_f32 v48, v140, v141, v48                            // 00000000D330: D1D30030 04C31B8C
	v_max3_f32 v48, v142, v143, v48                            // 00000000D338: D1D30030 04C31F8E
	ds_write_b32 v8, v48 offset:16896                          // 00000000D340: D81A4200 00003008
	v_mul_f32_e32 v216, v50, v216                              // 00000000D348: 0BB1B132
	v_mul_f32_e32 v217, v50, v217                              // 00000000D34C: 0BB3B332
	v_mul_f32_e32 v218, v50, v218                              // 00000000D350: 0BB5B532
	v_mul_f32_e32 v219, v50, v219                              // 00000000D354: 0BB7B732
	v_mul_f32_e32 v220, v50, v220                              // 00000000D358: 0BB9B932
	v_mul_f32_e32 v221, v50, v221                              // 00000000D35C: 0BBBBB32
	v_mul_f32_e32 v222, v50, v222                              // 00000000D360: 0BBDBD32
	v_mul_f32_e32 v223, v50, v223                              // 00000000D364: 0BBFBF32
	s_waitcnt lgkmcnt(0)                                       // 00000000D368: BF8CC07F
	s_barrier                                                  // 00000000D36C: BF8A0000
	ds_read_b32 v64, v7 offset:16896                           // 00000000D370: D86C4200 40000007
	ds_read_b32 v65, v7 offset:16960                           // 00000000D378: D86C4240 41000007
	ds_read_b32 v66, v7 offset:17024                           // 00000000D380: D86C4280 42000007
	ds_read_b32 v67, v7 offset:17088                           // 00000000D388: D86C42C0 43000007
	ds_read_b32 v68, v7 offset:17152                           // 00000000D390: D86C4300 44000007
	ds_read_b32 v69, v7 offset:17216                           // 00000000D398: D86C4340 45000007
	ds_read_b32 v70, v7 offset:17280                           // 00000000D3A0: D86C4380 46000007
	ds_read_b32 v71, v7 offset:17344                           // 00000000D3A8: D86C43C0 47000007
	ds_read_b32 v72, v7 offset:17408                           // 00000000D3B0: D86C4400 48000007
	ds_read_b32 v73, v7 offset:17472                           // 00000000D3B8: D86C4440 49000007
	ds_read_b32 v74, v7 offset:17536                           // 00000000D3C0: D86C4480 4A000007
	ds_read_b32 v75, v7 offset:17600                           // 00000000D3C8: D86C44C0 4B000007
	ds_read_b32 v76, v7 offset:17664                           // 00000000D3D0: D86C4500 4C000007
	ds_read_b32 v77, v7 offset:17728                           // 00000000D3D8: D86C4540 4D000007
	ds_read_b32 v78, v7 offset:17792                           // 00000000D3E0: D86C4580 4E000007
	ds_read_b32 v79, v7 offset:17856                           // 00000000D3E8: D86C45C0 4F000007
	v_mul_f32_e32 v184, v45, v184                              // 00000000D3F0: 0B71712D
	v_mul_f32_e32 v185, v45, v185                              // 00000000D3F4: 0B73732D
	v_mul_f32_e32 v186, v45, v186                              // 00000000D3F8: 0B75752D
	v_mul_f32_e32 v187, v45, v187                              // 00000000D3FC: 0B77772D
	v_mul_f32_e32 v188, v45, v188                              // 00000000D400: 0B79792D
	v_mul_f32_e32 v189, v45, v189                              // 00000000D404: 0B7B7B2D
	v_mul_f32_e32 v190, v45, v190                              // 00000000D408: 0B7D7D2D
	v_mul_f32_e32 v191, v45, v191                              // 00000000D40C: 0B7F7F2D
	s_waitcnt lgkmcnt(0)                                       // 00000000D410: BF8CC07F
	v_max3_f32 v48, v64, v65, v48                              // 00000000D414: D1D30030 04C28340
	v_max3_f32 v48, v66, v67, v48                              // 00000000D41C: D1D30030 04C28742
	v_max3_f32 v48, v68, v69, v48                              // 00000000D424: D1D30030 04C28B44
	v_max3_f32 v48, v70, v71, v48                              // 00000000D42C: D1D30030 04C28F46
	v_max3_f32 v48, v72, v73, v48                              // 00000000D434: D1D30030 04C29348
	v_max3_f32 v48, v74, v75, v48                              // 00000000D43C: D1D30030 04C2974A
	v_max3_f32 v48, v76, v77, v48                              // 00000000D444: D1D30030 04C29B4C
	v_max3_f32 v48, v78, v79, v48                              // 00000000D44C: D1D30030 04C29F4E
	v_mov_b32_e32 v64, 0xff800000                              // 00000000D454: 7E8002FF FF800000
	v_cmp_eq_u32_e64 s[40:41], v64, v12                        // 00000000D45C: D0CA0028 00021940
	s_nop 1                                                    // 00000000D464: BF800001
	v_max_f32_e32 v15, v48, v12                                // 00000000D468: 161E1930
	v_mul_f32_e32 v53, s64, v15                                // 00000000D46C: 0A6A1E40
	v_fma_f32 v128, v128, s64, -v53                            // 00000000D470: D1CB0080 84D48180
	v_fma_f32 v129, v129, s64, -v53                            // 00000000D478: D1CB0081 84D48181
	v_fma_f32 v130, v130, s64, -v53                            // 00000000D480: D1CB0082 84D48182
	v_fma_f32 v131, v131, s64, -v53                            // 00000000D488: D1CB0083 84D48183
	v_fma_f32 v132, v132, s64, -v53                            // 00000000D490: D1CB0084 84D48184
	v_fma_f32 v133, v133, s64, -v53                            // 00000000D498: D1CB0085 84D48185
	v_fma_f32 v134, v134, s64, -v53                            // 00000000D4A0: D1CB0086 84D48186
	v_fma_f32 v135, v135, s64, -v53                            // 00000000D4A8: D1CB0087 84D48187
	v_fma_f32 v136, v136, s64, -v53                            // 00000000D4B0: D1CB0088 84D48188
	v_fma_f32 v137, v137, s64, -v53                            // 00000000D4B8: D1CB0089 84D48189
	v_fma_f32 v138, v138, s64, -v53                            // 00000000D4C0: D1CB008A 84D4818A
	v_fma_f32 v139, v139, s64, -v53                            // 00000000D4C8: D1CB008B 84D4818B
	v_fma_f32 v140, v140, s64, -v53                            // 00000000D4D0: D1CB008C 84D4818C
	v_fma_f32 v141, v141, s64, -v53                            // 00000000D4D8: D1CB008D 84D4818D
	v_fma_f32 v142, v142, s64, -v53                            // 00000000D4E0: D1CB008E 84D4818E
	v_fma_f32 v143, v143, s64, -v53                            // 00000000D4E8: D1CB008F 84D4818F
	v_exp_f32_e32 v128, v128                                   // 00000000D4F0: 7F004180
	v_exp_f32_e32 v129, v129                                   // 00000000D4F4: 7F024181
	v_exp_f32_e32 v130, v130                                   // 00000000D4F8: 7F044182
	v_exp_f32_e32 v131, v131                                   // 00000000D4FC: 7F064183
	v_exp_f32_e32 v132, v132                                   // 00000000D500: 7F084184
	v_exp_f32_e32 v133, v133                                   // 00000000D504: 7F0A4185
	v_exp_f32_e32 v134, v134                                   // 00000000D508: 7F0C4186
	v_exp_f32_e32 v135, v135                                   // 00000000D50C: 7F0E4187
	v_exp_f32_e32 v136, v136                                   // 00000000D510: 7F104188
	v_exp_f32_e32 v137, v137                                   // 00000000D514: 7F124189
	v_exp_f32_e32 v138, v138                                   // 00000000D518: 7F14418A
	v_exp_f32_e32 v139, v139                                   // 00000000D51C: 7F16418B
	v_exp_f32_e32 v140, v140                                   // 00000000D520: 7F18418C
	v_exp_f32_e32 v141, v141                                   // 00000000D524: 7F1A418D
	v_exp_f32_e32 v142, v142                                   // 00000000D528: 7F1C418E
	v_exp_f32_e32 v143, v143                                   // 00000000D52C: 7F1E418F
	v_mul_f32_dpp v240, v252, v128 quad_perm:[0,0,0,0] row_mask:0xf bank_mask:0xf// 00000000D530: 0BE100FA FF0000FC
	v_mul_f32_dpp v241, v252, v129 quad_perm:[1,1,1,1] row_mask:0xf bank_mask:0xf// 00000000D538: 0BE302FA FF0055FC
	v_mul_f32_dpp v242, v252, v130 quad_perm:[2,2,2,2] row_mask:0xf bank_mask:0xf// 00000000D540: 0BE504FA FF00AAFC
	v_mul_f32_dpp v243, v252, v131 quad_perm:[3,3,3,3] row_mask:0xf bank_mask:0xf// 00000000D548: 0BE706FA FF00FFFC
	v_mul_f32_dpp v244, v253, v132 quad_perm:[0,0,0,0] row_mask:0xf bank_mask:0xf// 00000000D550: 0BE908FA FF0000FD
	v_mul_f32_dpp v245, v253, v133 quad_perm:[1,1,1,1] row_mask:0xf bank_mask:0xf// 00000000D558: 0BEB0AFA FF0055FD
	v_mul_f32_dpp v246, v253, v134 quad_perm:[2,2,2,2] row_mask:0xf bank_mask:0xf// 00000000D560: 0BED0CFA FF00AAFD
	v_mul_f32_dpp v247, v253, v135 quad_perm:[3,3,3,3] row_mask:0xf bank_mask:0xf// 00000000D568: 0BEF0EFA FF00FFFD
	v_mul_f32_dpp v248, v254, v136 quad_perm:[0,0,0,0] row_mask:0xf bank_mask:0xf// 00000000D570: 0BF110FA FF0000FE
	v_mul_f32_dpp v249, v254, v137 quad_perm:[1,1,1,1] row_mask:0xf bank_mask:0xf// 00000000D578: 0BF312FA FF0055FE
	v_mul_f32_dpp v250, v254, v138 quad_perm:[2,2,2,2] row_mask:0xf bank_mask:0xf// 00000000D580: 0BF514FA FF00AAFE
	v_mul_f32_dpp v251, v254, v139 quad_perm:[3,3,3,3] row_mask:0xf bank_mask:0xf// 00000000D588: 0BF716FA FF00FFFE
	v_mul_f32_dpp v252, v255, v140 quad_perm:[0,0,0,0] row_mask:0xf bank_mask:0xf// 00000000D590: 0BF918FA FF0000FF
	v_mul_f32_dpp v253, v255, v141 quad_perm:[1,1,1,1] row_mask:0xf bank_mask:0xf// 00000000D598: 0BFB1AFA FF0055FF
	v_mul_f32_dpp v254, v255, v142 quad_perm:[2,2,2,2] row_mask:0xf bank_mask:0xf// 00000000D5A0: 0BFD1CFA FF00AAFF
	v_mul_f32_dpp v255, v255, v143 quad_perm:[3,3,3,3] row_mask:0xf bank_mask:0xf// 00000000D5A8: 0BFF1EFA FF00FFFF
	v_mov_b32_e32 v48, 0x358637bd                              // 00000000D5B0: 7E6002FF 358637BD
	v_max3_f32 v48, |v240|, |v241|, v48                        // 00000000D5B8: D1D30330 04C3E3F0
	v_max3_f32 v48, |v242|, |v243|, v48                        // 00000000D5C0: D1D30330 04C3E7F2
	v_max3_f32 v48, |v244|, |v245|, v48                        // 00000000D5C8: D1D30330 04C3EBF4
	v_max3_f32 v48, |v246|, |v247|, v48                        // 00000000D5D0: D1D30330 04C3EFF6
	v_max3_f32 v48, |v248|, |v249|, v48                        // 00000000D5D8: D1D30330 04C3F3F8
	v_max3_f32 v48, |v250|, |v251|, v48                        // 00000000D5E0: D1D30330 04C3F7FA
	v_max3_f32 v48, |v252|, |v253|, v48                        // 00000000D5E8: D1D30330 04C3FBFC
	v_max3_f32 v48, |v254|, |v255|, v48                        // 00000000D5F0: D1D30330 04C3FFFE
	ds_write_b32 v8, v48 offset:20992                          // 00000000D5F8: D81A5200 00003008
	v_sub_f32_e32 v50, v12, v15                                // 00000000D600: 04641F0C
	v_cndmask_b32_e64 v50, v50, 0, s[40:41]                    // 00000000D604: D1000032 00A10132
	v_mov_b32_e32 v12, v15                                     // 00000000D60C: 7E18030F
	v_mul_f32_e32 v50, s64, v50                                // 00000000D610: 0A646440
	v_exp_f32_e32 v50, v50                                     // 00000000D614: 7E644132
	s_waitcnt lgkmcnt(0)                                       // 00000000D618: BF8CC07F
	s_barrier                                                  // 00000000D61C: BF8A0000
	ds_read_b32 v64, v7 offset:20992                           // 00000000D620: D86C5200 40000007
	ds_read_b32 v65, v7 offset:21056                           // 00000000D628: D86C5240 41000007
	ds_read_b32 v66, v7 offset:21120                           // 00000000D630: D86C5280 42000007
	ds_read_b32 v67, v7 offset:21184                           // 00000000D638: D86C52C0 43000007
	ds_read_b32 v68, v7 offset:21248                           // 00000000D640: D86C5300 44000007
	ds_read_b32 v69, v7 offset:21312                           // 00000000D648: D86C5340 45000007
	ds_read_b32 v70, v7 offset:21376                           // 00000000D650: D86C5380 46000007
	ds_read_b32 v71, v7 offset:21440                           // 00000000D658: D86C53C0 47000007
	ds_read_b32 v72, v7 offset:21504                           // 00000000D660: D86C5400 48000007
	ds_read_b32 v73, v7 offset:21568                           // 00000000D668: D86C5440 49000007
	ds_read_b32 v74, v7 offset:21632                           // 00000000D670: D86C5480 4A000007
	ds_read_b32 v75, v7 offset:21696                           // 00000000D678: D86C54C0 4B000007
	ds_read_b32 v76, v7 offset:21760                           // 00000000D680: D86C5500 4C000007
	ds_read_b32 v77, v7 offset:21824                           // 00000000D688: D86C5540 4D000007
	ds_read_b32 v78, v7 offset:21888                           // 00000000D690: D86C5580 4E000007
	ds_read_b32 v79, v7 offset:21952                           // 00000000D698: D86C55C0 4F000007
	v_mul_f32_e32 v39, v50, v39                                // 00000000D6A0: 0A4E4F32
	v_mov_b32_e32 v15, v128                                    // 00000000D6A4: 7E1E0380
	v_add_f32_e32 v15, v129, v15                               // 00000000D6A8: 021E1F81
	v_add_f32_e32 v15, v130, v15                               // 00000000D6AC: 021E1F82
	v_add_f32_e32 v15, v131, v15                               // 00000000D6B0: 021E1F83
	v_add_f32_e32 v15, v132, v15                               // 00000000D6B4: 021E1F84
	v_add_f32_e32 v15, v133, v15                               // 00000000D6B8: 021E1F85
	v_add_f32_e32 v15, v134, v15                               // 00000000D6BC: 021E1F86
	v_add_f32_e32 v15, v135, v15                               // 00000000D6C0: 021E1F87
	v_add_f32_e32 v15, v136, v15                               // 00000000D6C4: 021E1F88
	v_add_f32_e32 v15, v137, v15                               // 00000000D6C8: 021E1F89
	v_add_f32_e32 v15, v138, v15                               // 00000000D6CC: 021E1F8A
	v_add_f32_e32 v15, v139, v15                               // 00000000D6D0: 021E1F8B
	v_add_f32_e32 v15, v140, v15                               // 00000000D6D4: 021E1F8C
	v_add_f32_e32 v15, v141, v15                               // 00000000D6D8: 021E1F8D
	v_add_f32_e32 v15, v142, v15                               // 00000000D6DC: 021E1F8E
	v_add_f32_e32 v15, v143, v15                               // 00000000D6E0: 021E1F8F
	v_add_f32_e32 v39, v15, v39                                // 00000000D6E4: 024E4F0F
	s_waitcnt lgkmcnt(0)                                       // 00000000D6E8: BF8CC07F
	v_max3_f32 v48, |v64|, |v65|, v48                          // 00000000D6EC: D1D30330 04C28340
	v_max3_f32 v48, |v66|, |v67|, v48                          // 00000000D6F4: D1D30330 04C28742
	v_max3_f32 v48, |v68|, |v69|, v48                          // 00000000D6FC: D1D30330 04C28B44
	v_max3_f32 v48, |v70|, |v71|, v48                          // 00000000D704: D1D30330 04C28F46
	v_max3_f32 v48, |v72|, |v73|, v48                          // 00000000D70C: D1D30330 04C29348
	v_max3_f32 v48, |v74|, |v75|, v48                          // 00000000D714: D1D30330 04C2974A
	v_max3_f32 v48, |v76|, |v77|, v48                          // 00000000D71C: D1D30330 04C29B4C
	v_max3_f32 v48, |v78|, |v79|, v48                          // 00000000D724: D1D30330 04C29F4E
	s_nop 2                                                    // 00000000D72C: BF800002
	v_rcp_f32_e32 v48, v48                                     // 00000000D730: 7E604530
	s_nop 1                                                    // 00000000D734: BF800001
	v_mul_f32_e32 v48, 0x43e00000, v48                         // 00000000D738: 0A6060FF 43E00000
	v_mul_f32_e32 v128, v48, v240                              // 00000000D740: 0B01E130
	v_mul_f32_e32 v129, v48, v241                              // 00000000D744: 0B03E330
	v_mul_f32_e32 v130, v48, v242                              // 00000000D748: 0B05E530
	v_mul_f32_e32 v131, v48, v243                              // 00000000D74C: 0B07E730
	v_mul_f32_e32 v132, v48, v244                              // 00000000D750: 0B09E930
	v_mul_f32_e32 v133, v48, v245                              // 00000000D754: 0B0BEB30
	v_mul_f32_e32 v134, v48, v246                              // 00000000D758: 0B0DED30
	v_mul_f32_e32 v135, v48, v247                              // 00000000D75C: 0B0FEF30
	v_mul_f32_e32 v136, v48, v248                              // 00000000D760: 0B11F130
	v_mul_f32_e32 v137, v48, v249                              // 00000000D764: 0B13F330
	v_mul_f32_e32 v138, v48, v250                              // 00000000D768: 0B15F530
	v_mul_f32_e32 v139, v48, v251                              // 00000000D76C: 0B17F730
	v_mul_f32_e32 v140, v48, v252                              // 00000000D770: 0B19F930
	v_mul_f32_e32 v141, v48, v253                              // 00000000D774: 0B1BFB30
	v_mul_f32_e32 v142, v48, v254                              // 00000000D778: 0B1DFD30
	v_mul_f32_e32 v143, v48, v255                              // 00000000D77C: 0B1FFF30
	v_cvt_pk_fp8_f32 v128, v128, v129                          // 00000000D780: D2A20080 00030380
	v_cvt_pk_fp8_f32 v128, v130, v131 op_sel:[0,0,1]           // 00000000D788: D2A24080 00030782
	v_cvt_pk_fp8_f32 v129, v132, v133                          // 00000000D790: D2A20081 00030B84
	v_cvt_pk_fp8_f32 v129, v134, v135 op_sel:[0,0,1]           // 00000000D798: D2A24081 00030F86
	v_cvt_pk_fp8_f32 v130, v136, v137                          // 00000000D7A0: D2A20082 00031388
	v_cvt_pk_fp8_f32 v130, v138, v139 op_sel:[0,0,1]           // 00000000D7A8: D2A24082 0003178A
	v_cvt_pk_fp8_f32 v131, v140, v141                          // 00000000D7B0: D2A20083 00031B8C
	v_cvt_pk_fp8_f32 v131, v142, v143 op_sel:[0,0,1]           // 00000000D7B8: D2A24083 00031F8E
	ds_write_b32 v10, v128 offset:29184                        // 00000000D7C0: D81A7200 0000800A
	ds_write_b32 v10, v129 offset:30208                        // 00000000D7C8: D81A7600 0000810A
	ds_write_b32 v10, v130 offset:31232                        // 00000000D7D0: D81A7A00 0000820A
	ds_write_b32 v10, v131 offset:32256                        // 00000000D7D8: D81A7E00 0000830A
	v_add_f32_e32 v216, v216, v184                             // 00000000D7E0: 03B171D8
	v_add_f32_e32 v217, v217, v185                             // 00000000D7E4: 03B373D9
	v_add_f32_e32 v218, v218, v186                             // 00000000D7E8: 03B575DA
	v_add_f32_e32 v219, v219, v187                             // 00000000D7EC: 03B777DB
	v_add_f32_e32 v220, v220, v188                             // 00000000D7F0: 03B979DC
	v_add_f32_e32 v221, v221, v189                             // 00000000D7F4: 03BB7BDD
	v_add_f32_e32 v222, v222, v190                             // 00000000D7F8: 03BD7DDE
	v_add_f32_e32 v223, v223, v191                             // 00000000D7FC: 03BF7FDF
	v_rcp_f32_e32 v45, v48                                     // 00000000D800: 7E5A4530
	s_waitcnt lgkmcnt(0)                                       // 00000000D804: BF8CC07F
	s_barrier                                                  // 00000000D808: BF8A0000
	ds_read_b64 v[128:129], v9 offset:29184                    // 00000000D80C: D8EC7200 80000009
	ds_read_b64 v[130:131], v9 offset:29312                    // 00000000D814: D8EC7280 82000009
	ds_read_b64 v[132:133], v9 offset:30208                    // 00000000D81C: D8EC7600 84000009
	ds_read_b64 v[134:135], v9 offset:30336                    // 00000000D824: D8EC7680 86000009
	ds_read_b64 v[136:137], v9 offset:31232                    // 00000000D82C: D8EC7A00 88000009
	ds_read_b64 v[138:139], v9 offset:31360                    // 00000000D834: D8EC7A80 8A000009
	ds_read_b64 v[140:141], v9 offset:32256                    // 00000000D83C: D8EC7E00 8C000009
	ds_read_b64 v[142:143], v9 offset:32384                    // 00000000D844: D8EC7E80 8E000009
	s_waitcnt vmcnt(0)                                         // 00000000D84C: BF8C0F70
	s_barrier                                                  // 00000000D850: BF8A0000
	v_mfma_f32_16x16x32_fp8_fp8 v[176:179], a[96:97], v[112:113], 0// 00000000D854: D3F300B0 0A02E160
	v_mfma_f32_16x16x32_fp8_fp8 v[176:179], a[98:99], v[114:115], v[176:179]// 00000000D85C: D3F300B0 0EC2E562
	v_mfma_f32_16x16x32_fp8_fp8 v[176:179], a[100:101], v[116:117], v[176:179]// 00000000D864: D3F300B0 0EC2E964
	v_mfma_f32_16x16x32_fp8_fp8 v[176:179], a[102:103], v[118:119], v[176:179]// 00000000D86C: D3F300B0 0EC2ED66
	v_mfma_f32_16x16x32_fp8_fp8 v[176:179], a[104:105], v[120:121], v[176:179]// 00000000D874: D3F300B0 0EC2F168
	v_mfma_f32_16x16x32_fp8_fp8 v[176:179], a[106:107], v[122:123], v[176:179]// 00000000D87C: D3F300B0 0EC2F56A
	v_mfma_f32_16x16x32_fp8_fp8 v[176:179], a[108:109], v[124:125], v[176:179]// 00000000D884: D3F300B0 0EC2F96C
	v_mfma_f32_16x16x32_fp8_fp8 v[176:179], a[110:111], v[126:127], v[176:179]// 00000000D88C: D3F300B0 0EC2FD6E
	v_mfma_f32_16x16x32_fp8_fp8 v[180:183], a[112:113], v[112:113], 0// 00000000D894: D3F300B4 0A02E170
	v_mfma_f32_16x16x32_fp8_fp8 v[180:183], a[114:115], v[114:115], v[180:183]// 00000000D89C: D3F300B4 0ED2E572
	v_mfma_f32_16x16x32_fp8_fp8 v[180:183], a[116:117], v[116:117], v[180:183]// 00000000D8A4: D3F300B4 0ED2E974
	v_mfma_f32_16x16x32_fp8_fp8 v[180:183], a[118:119], v[118:119], v[180:183]// 00000000D8AC: D3F300B4 0ED2ED76
	v_mfma_f32_16x16x32_fp8_fp8 v[180:183], a[120:121], v[120:121], v[180:183]// 00000000D8B4: D3F300B4 0ED2F178
	v_mfma_f32_16x16x32_fp8_fp8 v[180:183], a[122:123], v[122:123], v[180:183]// 00000000D8BC: D3F300B4 0ED2F57A
	v_mfma_f32_16x16x32_fp8_fp8 v[180:183], a[124:125], v[124:125], v[180:183]// 00000000D8C4: D3F300B4 0ED2F97C
	v_mfma_f32_16x16x32_fp8_fp8 v[180:183], a[126:127], v[126:127], v[180:183]// 00000000D8CC: D3F300B4 0ED2FD7E
	v_mfma_f32_16x16x32_fp8_fp8 v[184:187], a[96:97], v[128:129], 0// 00000000D8D4: D3F300B8 0A030160
	v_mfma_f32_16x16x32_fp8_fp8 v[184:187], a[98:99], v[130:131], v[184:187]// 00000000D8DC: D3F300B8 0EE30562
	v_mfma_f32_16x16x32_fp8_fp8 v[184:187], a[100:101], v[132:133], v[184:187]// 00000000D8E4: D3F300B8 0EE30964
	v_mfma_f32_16x16x32_fp8_fp8 v[184:187], a[102:103], v[134:135], v[184:187]// 00000000D8EC: D3F300B8 0EE30D66
	v_mfma_f32_16x16x32_fp8_fp8 v[184:187], a[104:105], v[136:137], v[184:187]// 00000000D8F4: D3F300B8 0EE31168
	v_mfma_f32_16x16x32_fp8_fp8 v[184:187], a[106:107], v[138:139], v[184:187]// 00000000D8FC: D3F300B8 0EE3156A
	v_mfma_f32_16x16x32_fp8_fp8 v[184:187], a[108:109], v[140:141], v[184:187]// 00000000D904: D3F300B8 0EE3196C
	v_mfma_f32_16x16x32_fp8_fp8 v[184:187], a[110:111], v[142:143], v[184:187]// 00000000D90C: D3F300B8 0EE31D6E
	v_mfma_f32_16x16x32_fp8_fp8 v[188:191], a[112:113], v[128:129], 0// 00000000D914: D3F300BC 0A030170
	v_mfma_f32_16x16x32_fp8_fp8 v[188:191], a[114:115], v[130:131], v[188:191]// 00000000D91C: D3F300BC 0EF30572
	v_mfma_f32_16x16x32_fp8_fp8 v[188:191], a[116:117], v[132:133], v[188:191]// 00000000D924: D3F300BC 0EF30974
	v_mfma_f32_16x16x32_fp8_fp8 v[188:191], a[118:119], v[134:135], v[188:191]// 00000000D92C: D3F300BC 0EF30D76
	v_mfma_f32_16x16x32_fp8_fp8 v[188:191], a[120:121], v[136:137], v[188:191]// 00000000D934: D3F300BC 0EF31178
	v_mfma_f32_16x16x32_fp8_fp8 v[188:191], a[122:123], v[138:139], v[188:191]// 00000000D93C: D3F300BC 0EF3157A
	v_mfma_f32_16x16x32_fp8_fp8 v[188:191], a[124:125], v[140:141], v[188:191]// 00000000D944: D3F300BC 0EF3197C
	v_mfma_f32_16x16x32_fp8_fp8 v[188:191], a[126:127], v[142:143], v[188:191]// 00000000D94C: D3F300BC 0EF31D7E
	s_nop 4                                                    // 00000000D954: BF800004
	s_branch label_2DD7                                        // 00000000D958: BF820000

000000000000d95c <label_2DD7>:
	v_mul_f32_e32 v208, v49, v208                              // 00000000D95C: 0BA1A131
	v_mul_f32_e32 v209, v49, v209                              // 00000000D960: 0BA3A331
	v_mul_f32_e32 v210, v49, v210                              // 00000000D964: 0BA5A531
	v_mul_f32_e32 v211, v49, v211                              // 00000000D968: 0BA7A731
	v_mul_f32_e32 v212, v49, v212                              // 00000000D96C: 0BA9A931
	v_mul_f32_e32 v213, v49, v213                              // 00000000D970: 0BABAB31
	v_mul_f32_e32 v214, v49, v214                              // 00000000D974: 0BADAD31
	v_mul_f32_e32 v215, v49, v215                              // 00000000D978: 0BAFAF31
	v_mul_f32_e32 v176, v44, v176                              // 00000000D97C: 0B61612C
	v_mul_f32_e32 v177, v44, v177                              // 00000000D980: 0B63632C
	v_mul_f32_e32 v178, v44, v178                              // 00000000D984: 0B65652C
	v_mul_f32_e32 v179, v44, v179                              // 00000000D988: 0B67672C
	v_mul_f32_e32 v180, v44, v180                              // 00000000D98C: 0B69692C
	v_mul_f32_e32 v181, v44, v181                              // 00000000D990: 0B6B6B2C
	v_mul_f32_e32 v182, v44, v182                              // 00000000D994: 0B6D6D2C
	v_mul_f32_e32 v183, v44, v183                              // 00000000D998: 0B6F6F2C
	v_add_f32_e32 v208, v208, v176                             // 00000000D99C: 03A161D0
	v_add_f32_e32 v209, v209, v177                             // 00000000D9A0: 03A363D1
	v_add_f32_e32 v210, v210, v178                             // 00000000D9A4: 03A565D2
	v_add_f32_e32 v211, v211, v179                             // 00000000D9A8: 03A767D3
	v_add_f32_e32 v212, v212, v180                             // 00000000D9AC: 03A969D4
	v_add_f32_e32 v213, v213, v181                             // 00000000D9B0: 03AB6BD5
	v_add_f32_e32 v214, v214, v182                             // 00000000D9B4: 03AD6DD6
	v_add_f32_e32 v215, v215, v183                             // 00000000D9B8: 03AF6FD7
	ds_write_b32 v8, v38 offset:16896                          // 00000000D9BC: D81A4200 00002608
	s_waitcnt lgkmcnt(0)                                       // 00000000D9C4: BF8CC07F
	s_barrier                                                  // 00000000D9C8: BF8A0000
	ds_read_b32 v64, v7 offset:16896                           // 00000000D9CC: D86C4200 40000007
	ds_read_b32 v65, v7 offset:16960                           // 00000000D9D4: D86C4240 41000007
	ds_read_b32 v66, v7 offset:17024                           // 00000000D9DC: D86C4280 42000007
	ds_read_b32 v67, v7 offset:17088                           // 00000000D9E4: D86C42C0 43000007
	ds_read_b32 v68, v7 offset:17152                           // 00000000D9EC: D86C4300 44000007
	ds_read_b32 v69, v7 offset:17216                           // 00000000D9F4: D86C4340 45000007
	ds_read_b32 v70, v7 offset:17280                           // 00000000D9FC: D86C4380 46000007
	ds_read_b32 v71, v7 offset:17344                           // 00000000DA04: D86C43C0 47000007
	ds_read_b32 v72, v7 offset:17408                           // 00000000DA0C: D86C4400 48000007
	ds_read_b32 v73, v7 offset:17472                           // 00000000DA14: D86C4440 49000007
	ds_read_b32 v74, v7 offset:17536                           // 00000000DA1C: D86C4480 4A000007
	ds_read_b32 v75, v7 offset:17600                           // 00000000DA24: D86C44C0 4B000007
	ds_read_b32 v76, v7 offset:17664                           // 00000000DA2C: D86C4500 4C000007
	ds_read_b32 v77, v7 offset:17728                           // 00000000DA34: D86C4540 4D000007
	ds_read_b32 v78, v7 offset:17792                           // 00000000DA3C: D86C4580 4E000007
	ds_read_b32 v79, v7 offset:17856                           // 00000000DA44: D86C45C0 4F000007
	s_waitcnt lgkmcnt(0)                                       // 00000000DA4C: BF8CC07F
	v_mov_b32_e32 v38, 0                                       // 00000000DA50: 7E4C0280
	v_add_f32_e32 v38, v64, v38                                // 00000000DA54: 024C4D40
	v_add_f32_e32 v38, v65, v38                                // 00000000DA58: 024C4D41
	v_add_f32_e32 v38, v66, v38                                // 00000000DA5C: 024C4D42
	v_add_f32_e32 v38, v67, v38                                // 00000000DA60: 024C4D43
	v_add_f32_e32 v38, v68, v38                                // 00000000DA64: 024C4D44
	v_add_f32_e32 v38, v69, v38                                // 00000000DA68: 024C4D45
	v_add_f32_e32 v38, v70, v38                                // 00000000DA6C: 024C4D46
	v_add_f32_e32 v38, v71, v38                                // 00000000DA70: 024C4D47
	v_add_f32_e32 v38, v72, v38                                // 00000000DA74: 024C4D48
	v_add_f32_e32 v38, v73, v38                                // 00000000DA78: 024C4D49
	v_add_f32_e32 v38, v74, v38                                // 00000000DA7C: 024C4D4A
	v_add_f32_e32 v38, v75, v38                                // 00000000DA80: 024C4D4B
	v_add_f32_e32 v38, v76, v38                                // 00000000DA84: 024C4D4C
	v_add_f32_e32 v38, v77, v38                                // 00000000DA88: 024C4D4D
	v_add_f32_e32 v38, v78, v38                                // 00000000DA8C: 024C4D4E
	v_add_f32_e32 v38, v79, v38                                // 00000000DA90: 024C4D4F
	s_nop 1                                                    // 00000000DA94: BF800001
	v_rcp_f32_e32 v38, v38                                     // 00000000DA98: 7E4C4526
	s_nop 1                                                    // 00000000DA9C: BF800001
	v_mul_f32_e32 v208, v38, v208                              // 00000000DAA0: 0BA1A126
	v_mul_f32_e32 v209, v38, v209                              // 00000000DAA4: 0BA3A326
	v_mul_f32_e32 v210, v38, v210                              // 00000000DAA8: 0BA5A526
	v_mul_f32_e32 v211, v38, v211                              // 00000000DAAC: 0BA7A726
	v_mul_f32_e32 v212, v38, v212                              // 00000000DAB0: 0BA9A926
	v_mul_f32_e32 v213, v38, v213                              // 00000000DAB4: 0BABAB26
	v_mul_f32_e32 v214, v38, v214                              // 00000000DAB8: 0BADAD26
	v_mul_f32_e32 v215, v38, v215                              // 00000000DABC: 0BAFAF26
	v_mov_b32_e32 v19, 0xffff0000                              // 00000000DAC0: 7E2602FF FFFF0000
	v_mov_b32_e32 v20, 0x7fff0000                              // 00000000DAC8: 7E2802FF 7FFF0000
	v_mov_b32_e32 v21, 0x7fff                                  // 00000000DAD0: 7E2A02FF 00007FFF
	v_cmp_u_f32_e64 s[40:41], v208, v208                       // 00000000DAD8: D0480028 0003A1D0
	v_add3_u32 v18, v208, v21, 1                               // 00000000DAE0: D1FF0012 02062BD0
	v_cndmask_b32_e64 v64, v18, v20, s[40:41]                  // 00000000DAE8: D1000040 00A22912
	v_cmp_u_f32_e64 s[40:41], v209, v209                       // 00000000DAF0: D0480028 0003A3D1
	v_add3_u32 v18, v209, v21, 1                               // 00000000DAF8: D1FF0012 02062BD1
	v_cndmask_b32_e64 v65, v18, v20, s[40:41]                  // 00000000DB00: D1000041 00A22912
	v_perm_b32 v208, v65, v64, s52                             // 00000000DB08: D1ED00D0 00D28141
	v_cmp_u_f32_e64 s[40:41], v210, v210                       // 00000000DB10: D0480028 0003A5D2
	v_add3_u32 v18, v210, v21, 1                               // 00000000DB18: D1FF0012 02062BD2
	v_cndmask_b32_e64 v64, v18, v20, s[40:41]                  // 00000000DB20: D1000040 00A22912
	v_cmp_u_f32_e64 s[40:41], v211, v211                       // 00000000DB28: D0480028 0003A7D3
	v_add3_u32 v18, v211, v21, 1                               // 00000000DB30: D1FF0012 02062BD3
	v_cndmask_b32_e64 v65, v18, v20, s[40:41]                  // 00000000DB38: D1000041 00A22912
	v_perm_b32 v209, v65, v64, s52                             // 00000000DB40: D1ED00D1 00D28141
	v_cmp_u_f32_e64 s[40:41], v212, v212                       // 00000000DB48: D0480028 0003A9D4
	v_add3_u32 v18, v212, v21, 1                               // 00000000DB50: D1FF0012 02062BD4
	v_cndmask_b32_e64 v64, v18, v20, s[40:41]                  // 00000000DB58: D1000040 00A22912
	v_cmp_u_f32_e64 s[40:41], v213, v213                       // 00000000DB60: D0480028 0003ABD5
	v_add3_u32 v18, v213, v21, 1                               // 00000000DB68: D1FF0012 02062BD5
	v_cndmask_b32_e64 v65, v18, v20, s[40:41]                  // 00000000DB70: D1000041 00A22912
	v_perm_b32 v210, v65, v64, s52                             // 00000000DB78: D1ED00D2 00D28141
	v_cmp_u_f32_e64 s[40:41], v214, v214                       // 00000000DB80: D0480028 0003ADD6
	v_add3_u32 v18, v214, v21, 1                               // 00000000DB88: D1FF0012 02062BD6
	v_cndmask_b32_e64 v64, v18, v20, s[40:41]                  // 00000000DB90: D1000040 00A22912
	v_cmp_u_f32_e64 s[40:41], v215, v215                       // 00000000DB98: D0480028 0003AFD7
	v_add3_u32 v18, v215, v21, 1                               // 00000000DBA0: D1FF0012 02062BD7
	v_cndmask_b32_e64 v65, v18, v20, s[40:41]                  // 00000000DBA8: D1000041 00A22912
	v_perm_b32 v211, v65, v64, s52                             // 00000000DBB0: D1ED00D3 00D28141
	s_nop 1                                                    // 00000000DBB8: BF800001
	v_lshrrev_b32_e32 v64, 4, v0                               // 00000000DBBC: 20800084
	v_mul_i32_i24_e32 v68, 34, v64                             // 00000000DBC0: 0C8880A2
	v_and_b32_e32 v64, 15, v0                                  // 00000000DBC4: 2680008F
	v_mul_i32_i24_e32 v65, 2, v64                              // 00000000DBC8: 0C828082
	v_add_u32_e32 v68, v65, v68                                // 00000000DBCC: 68888941
	s_mul_i32 s60, s7, 0x88                                    // 00000000DBD0: 923CFF07 00000088
	v_add_u32_e32 v68, s60, v68                                // 00000000DBD8: 6888883C
	v_lshlrev_b32_e32 v68, 2, v68                              // 00000000DBDC: 24888882
	ds_write_b64 v68, v[208:209] offset:41472                  // 00000000DBE0: D89AA200 0000D044
	ds_write_b64 v68, v[210:211] offset:43648                  // 00000000DBE8: D89AAA80 0000D244
	v_lshrrev_b32_e32 v64, 1, v0                               // 00000000DBF0: 20800081
	v_mul_i32_i24_e32 v68, 34, v64                             // 00000000DBF4: 0C8880A2
	v_and_b32_e32 v65, 1, v0                                   // 00000000DBF8: 26820081
	v_add_u32_e32 v68, v65, v68                                // 00000000DBFC: 68888941
	s_mul_i32 s60, s7, 2                                       // 00000000DC00: 923C8207
	v_add_u32_e32 v68, s60, v68                                // 00000000DC04: 6888883C
	v_lshlrev_b32_e32 v68, 2, v68                              // 00000000DC08: 24888882
	s_waitcnt lgkmcnt(0)                                       // 00000000DC0C: BF8CC07F
	s_barrier                                                  // 00000000DC10: BF8A0000
	ds_read_b32 v208, v68 offset:41472                         // 00000000DC14: D86CA200 D0000044
	ds_read_b32 v209, v68 offset:41504                         // 00000000DC1C: D86CA220 D1000044
	ds_read_b32 v210, v68 offset:41536                         // 00000000DC24: D86CA240 D2000044
	ds_read_b32 v211, v68 offset:41568                         // 00000000DC2C: D86CA260 D3000044
	s_mul_i32 s60, s7, 0x100                                   // 00000000DC34: 923CFF07 00000100
	v_lshlrev_b32_e32 v64, 2, v0                               // 00000000DC3C: 24800082
	v_add_u32_e64 v64, v64, s60                                // 00000000DC40: D1340040 00007940
	s_waitcnt lgkmcnt(0)                                       // 00000000DC48: BF8CC07F
	buffer_store_dword v208, v64, s[8:11], 0 offen             // 00000000DC4C: E0701000 8002D040
	buffer_store_dword v209, v64, s[8:11], 0 offen offset:1024 // 00000000DC54: E0701400 8002D140
	buffer_store_dword v210, v64, s[8:11], 0 offen offset:2048 // 00000000DC5C: E0701800 8002D240
	buffer_store_dword v211, v64, s[8:11], 0 offen offset:3072 // 00000000DC64: E0701C00 8002D340
	s_add_u32 s8, s75, s8                                      // 00000000DC6C: 8008084B
	s_addc_u32 s9, 0, s9                                       // 00000000DC70: 82090980
	v_mul_f32_e32 v216, v50, v216                              // 00000000DC74: 0BB1B132
	v_mul_f32_e32 v217, v50, v217                              // 00000000DC78: 0BB3B332
	v_mul_f32_e32 v218, v50, v218                              // 00000000DC7C: 0BB5B532
	v_mul_f32_e32 v219, v50, v219                              // 00000000DC80: 0BB7B732
	v_mul_f32_e32 v220, v50, v220                              // 00000000DC84: 0BB9B932
	v_mul_f32_e32 v221, v50, v221                              // 00000000DC88: 0BBBBB32
	v_mul_f32_e32 v222, v50, v222                              // 00000000DC8C: 0BBDBD32
	v_mul_f32_e32 v223, v50, v223                              // 00000000DC90: 0BBFBF32
	v_mul_f32_e32 v184, v45, v184                              // 00000000DC94: 0B71712D
	v_mul_f32_e32 v185, v45, v185                              // 00000000DC98: 0B73732D
	v_mul_f32_e32 v186, v45, v186                              // 00000000DC9C: 0B75752D
	v_mul_f32_e32 v187, v45, v187                              // 00000000DCA0: 0B77772D
	v_mul_f32_e32 v188, v45, v188                              // 00000000DCA4: 0B79792D
	v_mul_f32_e32 v189, v45, v189                              // 00000000DCA8: 0B7B7B2D
	v_mul_f32_e32 v190, v45, v190                              // 00000000DCAC: 0B7D7D2D
	v_mul_f32_e32 v191, v45, v191                              // 00000000DCB0: 0B7F7F2D
	v_add_f32_e32 v216, v216, v184                             // 00000000DCB4: 03B171D8
	v_add_f32_e32 v217, v217, v185                             // 00000000DCB8: 03B373D9
	v_add_f32_e32 v218, v218, v186                             // 00000000DCBC: 03B575DA
	v_add_f32_e32 v219, v219, v187                             // 00000000DCC0: 03B777DB
	v_add_f32_e32 v220, v220, v188                             // 00000000DCC4: 03B979DC
	v_add_f32_e32 v221, v221, v189                             // 00000000DCC8: 03BB7BDD
	v_add_f32_e32 v222, v222, v190                             // 00000000DCCC: 03BD7DDE
	v_add_f32_e32 v223, v223, v191                             // 00000000DCD0: 03BF7FDF
	ds_write_b32 v8, v39 offset:16896                          // 00000000DCD4: D81A4200 00002708
	s_waitcnt lgkmcnt(0)                                       // 00000000DCDC: BF8CC07F
	s_barrier                                                  // 00000000DCE0: BF8A0000
	ds_read_b32 v64, v7 offset:16896                           // 00000000DCE4: D86C4200 40000007
	ds_read_b32 v65, v7 offset:16960                           // 00000000DCEC: D86C4240 41000007
	ds_read_b32 v66, v7 offset:17024                           // 00000000DCF4: D86C4280 42000007
	ds_read_b32 v67, v7 offset:17088                           // 00000000DCFC: D86C42C0 43000007
	ds_read_b32 v68, v7 offset:17152                           // 00000000DD04: D86C4300 44000007
	ds_read_b32 v69, v7 offset:17216                           // 00000000DD0C: D86C4340 45000007
	ds_read_b32 v70, v7 offset:17280                           // 00000000DD14: D86C4380 46000007
	ds_read_b32 v71, v7 offset:17344                           // 00000000DD1C: D86C43C0 47000007
	ds_read_b32 v72, v7 offset:17408                           // 00000000DD24: D86C4400 48000007
	ds_read_b32 v73, v7 offset:17472                           // 00000000DD2C: D86C4440 49000007
	ds_read_b32 v74, v7 offset:17536                           // 00000000DD34: D86C4480 4A000007
	ds_read_b32 v75, v7 offset:17600                           // 00000000DD3C: D86C44C0 4B000007
	ds_read_b32 v76, v7 offset:17664                           // 00000000DD44: D86C4500 4C000007
	ds_read_b32 v77, v7 offset:17728                           // 00000000DD4C: D86C4540 4D000007
	ds_read_b32 v78, v7 offset:17792                           // 00000000DD54: D86C4580 4E000007
	ds_read_b32 v79, v7 offset:17856                           // 00000000DD5C: D86C45C0 4F000007
	s_waitcnt lgkmcnt(0)                                       // 00000000DD64: BF8CC07F
	v_mov_b32_e32 v39, 0                                       // 00000000DD68: 7E4E0280
	v_add_f32_e32 v39, v64, v39                                // 00000000DD6C: 024E4F40
	v_add_f32_e32 v39, v65, v39                                // 00000000DD70: 024E4F41
	v_add_f32_e32 v39, v66, v39                                // 00000000DD74: 024E4F42
	v_add_f32_e32 v39, v67, v39                                // 00000000DD78: 024E4F43
	v_add_f32_e32 v39, v68, v39                                // 00000000DD7C: 024E4F44
	v_add_f32_e32 v39, v69, v39                                // 00000000DD80: 024E4F45
	v_add_f32_e32 v39, v70, v39                                // 00000000DD84: 024E4F46
	v_add_f32_e32 v39, v71, v39                                // 00000000DD88: 024E4F47
	v_add_f32_e32 v39, v72, v39                                // 00000000DD8C: 024E4F48
	v_add_f32_e32 v39, v73, v39                                // 00000000DD90: 024E4F49
	v_add_f32_e32 v39, v74, v39                                // 00000000DD94: 024E4F4A
	v_add_f32_e32 v39, v75, v39                                // 00000000DD98: 024E4F4B
	v_add_f32_e32 v39, v76, v39                                // 00000000DD9C: 024E4F4C
	v_add_f32_e32 v39, v77, v39                                // 00000000DDA0: 024E4F4D
	v_add_f32_e32 v39, v78, v39                                // 00000000DDA4: 024E4F4E
	v_add_f32_e32 v39, v79, v39                                // 00000000DDA8: 024E4F4F
	s_nop 1                                                    // 00000000DDAC: BF800001
	v_rcp_f32_e32 v39, v39                                     // 00000000DDB0: 7E4E4527
	s_nop 1                                                    // 00000000DDB4: BF800001
	v_mul_f32_e32 v216, v39, v216                              // 00000000DDB8: 0BB1B127
	v_mul_f32_e32 v217, v39, v217                              // 00000000DDBC: 0BB3B327
	v_mul_f32_e32 v218, v39, v218                              // 00000000DDC0: 0BB5B527
	v_mul_f32_e32 v219, v39, v219                              // 00000000DDC4: 0BB7B727
	v_mul_f32_e32 v220, v39, v220                              // 00000000DDC8: 0BB9B927
	v_mul_f32_e32 v221, v39, v221                              // 00000000DDCC: 0BBBBB27
	v_mul_f32_e32 v222, v39, v222                              // 00000000DDD0: 0BBDBD27
	v_mul_f32_e32 v223, v39, v223                              // 00000000DDD4: 0BBFBF27
	v_mov_b32_e32 v19, 0xffff0000                              // 00000000DDD8: 7E2602FF FFFF0000
	v_mov_b32_e32 v20, 0x7fff0000                              // 00000000DDE0: 7E2802FF 7FFF0000
	v_mov_b32_e32 v21, 0x7fff                                  // 00000000DDE8: 7E2A02FF 00007FFF
	v_cmp_u_f32_e64 s[40:41], v216, v216                       // 00000000DDF0: D0480028 0003B1D8
	v_add3_u32 v18, v216, v21, 1                               // 00000000DDF8: D1FF0012 02062BD8
	v_cndmask_b32_e64 v64, v18, v20, s[40:41]                  // 00000000DE00: D1000040 00A22912
	v_cmp_u_f32_e64 s[40:41], v217, v217                       // 00000000DE08: D0480028 0003B3D9
	v_add3_u32 v18, v217, v21, 1                               // 00000000DE10: D1FF0012 02062BD9
	v_cndmask_b32_e64 v65, v18, v20, s[40:41]                  // 00000000DE18: D1000041 00A22912
	v_perm_b32 v216, v65, v64, s52                             // 00000000DE20: D1ED00D8 00D28141
	v_cmp_u_f32_e64 s[40:41], v218, v218                       // 00000000DE28: D0480028 0003B5DA
	v_add3_u32 v18, v218, v21, 1                               // 00000000DE30: D1FF0012 02062BDA
	v_cndmask_b32_e64 v64, v18, v20, s[40:41]                  // 00000000DE38: D1000040 00A22912
	v_cmp_u_f32_e64 s[40:41], v219, v219                       // 00000000DE40: D0480028 0003B7DB
	v_add3_u32 v18, v219, v21, 1                               // 00000000DE48: D1FF0012 02062BDB
	v_cndmask_b32_e64 v65, v18, v20, s[40:41]                  // 00000000DE50: D1000041 00A22912
	v_perm_b32 v217, v65, v64, s52                             // 00000000DE58: D1ED00D9 00D28141
	v_cmp_u_f32_e64 s[40:41], v220, v220                       // 00000000DE60: D0480028 0003B9DC
	v_add3_u32 v18, v220, v21, 1                               // 00000000DE68: D1FF0012 02062BDC
	v_cndmask_b32_e64 v64, v18, v20, s[40:41]                  // 00000000DE70: D1000040 00A22912
	v_cmp_u_f32_e64 s[40:41], v221, v221                       // 00000000DE78: D0480028 0003BBDD
	v_add3_u32 v18, v221, v21, 1                               // 00000000DE80: D1FF0012 02062BDD
	v_cndmask_b32_e64 v65, v18, v20, s[40:41]                  // 00000000DE88: D1000041 00A22912
	v_perm_b32 v218, v65, v64, s52                             // 00000000DE90: D1ED00DA 00D28141
	v_cmp_u_f32_e64 s[40:41], v222, v222                       // 00000000DE98: D0480028 0003BDDE
	v_add3_u32 v18, v222, v21, 1                               // 00000000DEA0: D1FF0012 02062BDE
	v_cndmask_b32_e64 v64, v18, v20, s[40:41]                  // 00000000DEA8: D1000040 00A22912
	v_cmp_u_f32_e64 s[40:41], v223, v223                       // 00000000DEB0: D0480028 0003BFDF
	v_add3_u32 v18, v223, v21, 1                               // 00000000DEB8: D1FF0012 02062BDF
	v_cndmask_b32_e64 v65, v18, v20, s[40:41]                  // 00000000DEC0: D1000041 00A22912
	v_perm_b32 v219, v65, v64, s52                             // 00000000DEC8: D1ED00DB 00D28141
	s_nop 1                                                    // 00000000DED0: BF800001
	v_lshrrev_b32_e32 v64, 4, v0                               // 00000000DED4: 20800084
	v_mul_i32_i24_e32 v68, 34, v64                             // 00000000DED8: 0C8880A2
	v_and_b32_e32 v64, 15, v0                                  // 00000000DEDC: 2680008F
	v_mul_i32_i24_e32 v65, 2, v64                              // 00000000DEE0: 0C828082
	v_add_u32_e32 v68, v65, v68                                // 00000000DEE4: 68888941
	s_mul_i32 s60, s7, 0x88                                    // 00000000DEE8: 923CFF07 00000088
	v_add_u32_e32 v68, s60, v68                                // 00000000DEF0: 6888883C
	v_lshlrev_b32_e32 v68, 2, v68                              // 00000000DEF4: 24888882
	ds_write_b64 v68, v[216:217] offset:41472                  // 00000000DEF8: D89AA200 0000D844
	ds_write_b64 v68, v[218:219] offset:43648                  // 00000000DF00: D89AAA80 0000DA44
	v_lshrrev_b32_e32 v64, 1, v0                               // 00000000DF08: 20800081
	v_mul_i32_i24_e32 v68, 34, v64                             // 00000000DF0C: 0C8880A2
	v_and_b32_e32 v65, 1, v0                                   // 00000000DF10: 26820081
	v_add_u32_e32 v68, v65, v68                                // 00000000DF14: 68888941
	s_mul_i32 s60, s7, 2                                       // 00000000DF18: 923C8207
	v_add_u32_e32 v68, s60, v68                                // 00000000DF1C: 6888883C
	v_lshlrev_b32_e32 v68, 2, v68                              // 00000000DF20: 24888882
	s_waitcnt lgkmcnt(0)                                       // 00000000DF24: BF8CC07F
	s_barrier                                                  // 00000000DF28: BF8A0000
	ds_read_b32 v216, v68 offset:41472                         // 00000000DF2C: D86CA200 D8000044
	ds_read_b32 v217, v68 offset:41504                         // 00000000DF34: D86CA220 D9000044
	ds_read_b32 v218, v68 offset:41536                         // 00000000DF3C: D86CA240 DA000044
	ds_read_b32 v219, v68 offset:41568                         // 00000000DF44: D86CA260 DB000044
	s_mul_i32 s60, s7, 0x100                                   // 00000000DF4C: 923CFF07 00000100
	v_lshlrev_b32_e32 v64, 2, v0                               // 00000000DF54: 24800082
	v_add_u32_e64 v64, v64, s60                                // 00000000DF58: D1340040 00007940
	s_waitcnt lgkmcnt(0)                                       // 00000000DF60: BF8CC07F
	buffer_store_dword v216, v64, s[8:11], 0 offen             // 00000000DF64: E0701000 8002D840
	buffer_store_dword v217, v64, s[8:11], 0 offen offset:1024 // 00000000DF6C: E0701400 8002D940
	buffer_store_dword v218, v64, s[8:11], 0 offen offset:2048 // 00000000DF74: E0701800 8002DA40
	buffer_store_dword v219, v64, s[8:11], 0 offen offset:3072 // 00000000DF7C: E0701C00 8002DB40
	s_add_u32 s8, s75, s8                                      // 00000000DF84: 8008084B
	s_addc_u32 s9, 0, s9                                       // 00000000DF88: 82090980

000000000000df8c <label_2F63>:
	s_branch label_5BC8                                        // 00000000DF8C: BF822C64

000000000000df90 <label_2F64>:
	s_mul_i32 s60, s3, s65                                     // 00000000DF90: 923C4103
	s_mul_i32 s60, s60, 4                                      // 00000000DF94: 923C843C
	s_add_u32 s24, s60, s24                                    // 00000000DF98: 8018183C
	s_addc_u32 s25, 0, s25                                     // 00000000DF9C: 82191980
	s_mov_b32 s56, 64                                          // 00000000DFA0: BEB800C0
	s_add_u32 s73, s72, 15                                     // 00000000DFA4: 80498F48
	s_lshr_b32 s73, s73, 4                                     // 00000000DFA8: 8F498449
	s_mul_i32 s60, s73, 4                                      // 00000000DFAC: 923C8449
	s_mov_b32 s26, s60                                         // 00000000DFB0: BE9A003C
	v_and_b32_e32 v65, 3, v0                                   // 00000000DFB4: 26820083
	v_cmp_eq_u32_e64 s[60:61], 0, v65                          // 00000000DFB8: D0CA003C 00028280
	v_and_b32_e32 v64, 12, v0                                  // 00000000DFC0: 2680008C
	v_add_u32_e32 v1, s7, v64                                  // 00000000DFC4: 68028007
	v_cndmask_b32_e64 v1, 0, v1, s[60:61]                      // 00000000DFC8: D1000001 00F20280
	v_and_b32_e32 v65, 3, v0                                   // 00000000DFD0: 26820083
	v_cmp_eq_u32_e64 s[60:61], 1, v65                          // 00000000DFD4: D0CA003C 00028281
	v_lshrrev_b32_e32 v64, 4, v0                               // 00000000DFDC: 20800084
	v_and_b32_e32 v65, 12, v0                                  // 00000000DFE0: 2682008C
	v_add_u32_e32 v64, v65, v64                                // 00000000DFE4: 68808141
	v_cndmask_b32_e64 v64, 0, v64, s[60:61]                    // 00000000DFE8: D1000040 00F28080
	v_add_u32_e32 v1, v1, v64                                  // 00000000DFF0: 68028101
	v_lshlrev_b32_e32 v1, 2, v1                                // 00000000DFF4: 24020282
	buffer_load_dword v16, v1, s[24:27], 0 offen               // 00000000DFF8: E0501000 80061001
	v_add_u32_e32 v1, s56, v1                                  // 00000000E000: 68020238
	buffer_load_dword v17, v1, s[24:27], 0 offen               // 00000000E004: E0501000 80061101
	s_cmp_le_u32 s73, 32                                       // 00000000E00C: BF0BA049
	s_cselect_b32 s56, 0, s56                                  // 00000000E010: 85383880
	s_mul_i32 s60, s2, s67                                     // 00000000E014: 923C4302
	s_mul_i32 s61, s84, s74                                    // 00000000E018: 923D4A54
	s_add_u32 s60, s60, s61                                    // 00000000E01C: 803C3D3C
	s_add_u32 s12, s60, s12                                    // 00000000E020: 800C0C3C
	s_addc_u32 s13, 0, s13                                     // 00000000E024: 820D0D80
	s_mul_i32 s60, s7, 0x108                                   // 00000000E028: 923CFF07 00000108
	s_add_u32 m0, 0, s60                                       // 00000000E030: 807C3C80
	s_mul_i32 s60, s7, 0x100                                   // 00000000E034: 923CFF07 00000100
	v_lshlrev_b32_e32 v64, 2, v0                               // 00000000E03C: 24800082
	v_add_u32_e64 v64, v64, s60                                // 00000000E040: D1340040 00007940
	v_add_u32_e32 v65, 0x400, v64                              // 00000000E048: 688280FF 00000400
	v_add_u32_e32 v66, 0x800, v64                              // 00000000E050: 688480FF 00000800
	v_add_u32_e32 v67, 0xc00, v64                              // 00000000E058: 688680FF 00000C00
	buffer_load_dword v64, s[12:15], 0 offen lds               // 00000000E060: E0511000 80030040
	s_mul_i32 s60, 4, 0x108                                    // 00000000E068: 923CFF84 00000108
	s_add_u32 m0, m0, s60                                      // 00000000E070: 807C3C7C
	buffer_load_dword v65, s[12:15], 0 offen lds               // 00000000E074: E0511000 80030041
	s_mul_i32 s60, 4, 0x108                                    // 00000000E07C: 923CFF84 00000108
	s_add_u32 m0, m0, s60                                      // 00000000E084: 807C3C7C
	buffer_load_dword v66, s[12:15], 0 offen lds               // 00000000E088: E0511000 80030042
	s_mul_i32 s60, 4, 0x108                                    // 00000000E090: 923CFF84 00000108
	s_add_u32 m0, m0, s60                                      // 00000000E098: 807C3C7C
	buffer_load_dword v67, s[12:15], 0 offen lds               // 00000000E09C: E0511000 80030043
	s_mul_i32 s60, 4, 0x108                                    // 00000000E0A4: 923CFF84 00000108
	s_add_u32 m0, m0, s60                                      // 00000000E0AC: 807C3C7C
	s_add_u32 s12, s74, s12                                    // 00000000E0B0: 800C0C4A
	s_addc_u32 s13, 0, s13                                     // 00000000E0B4: 820D0D80
	buffer_load_dword v64, s[12:15], 0 offen lds               // 00000000E0B8: E0511000 80030040
	s_mul_i32 s60, 4, 0x108                                    // 00000000E0C0: 923CFF84 00000108
	s_add_u32 m0, m0, s60                                      // 00000000E0C8: 807C3C7C
	buffer_load_dword v65, s[12:15], 0 offen lds               // 00000000E0CC: E0511000 80030041
	s_mul_i32 s60, 4, 0x108                                    // 00000000E0D4: 923CFF84 00000108
	s_add_u32 m0, m0, s60                                      // 00000000E0DC: 807C3C7C
	buffer_load_dword v66, s[12:15], 0 offen lds               // 00000000E0E0: E0511000 80030042
	s_mul_i32 s60, 4, 0x108                                    // 00000000E0E8: 923CFF84 00000108
	s_add_u32 m0, m0, s60                                      // 00000000E0F0: 807C3C7C
	buffer_load_dword v67, s[12:15], 0 offen lds               // 00000000E0F4: E0511000 80030043
	s_mul_i32 s60, 4, 0x108                                    // 00000000E0FC: 923CFF84 00000108
	s_add_u32 m0, m0, s60                                      // 00000000E104: 807C3C7C
	s_add_u32 s12, s74, s12                                    // 00000000E108: 800C0C4A
	s_addc_u32 s13, 0, s13                                     // 00000000E10C: 820D0D80
	buffer_load_dword v64, s[12:15], 0 offen lds               // 00000000E110: E0511000 80030040
	s_mul_i32 s60, 4, 0x108                                    // 00000000E118: 923CFF84 00000108
	s_add_u32 m0, m0, s60                                      // 00000000E120: 807C3C7C
	buffer_load_dword v65, s[12:15], 0 offen lds               // 00000000E124: E0511000 80030041
	s_mul_i32 s60, 4, 0x108                                    // 00000000E12C: 923CFF84 00000108
	s_add_u32 m0, m0, s60                                      // 00000000E134: 807C3C7C
	buffer_load_dword v66, s[12:15], 0 offen lds               // 00000000E138: E0511000 80030042
	s_mul_i32 s60, 4, 0x108                                    // 00000000E140: 923CFF84 00000108
	s_add_u32 m0, m0, s60                                      // 00000000E148: 807C3C7C
	buffer_load_dword v67, s[12:15], 0 offen lds               // 00000000E14C: E0511000 80030043
	s_mul_i32 s60, 4, 0x108                                    // 00000000E154: 923CFF84 00000108
	s_add_u32 m0, m0, s60                                      // 00000000E15C: 807C3C7C
	s_add_u32 s12, s74, s12                                    // 00000000E160: 800C0C4A
	s_addc_u32 s13, 0, s13                                     // 00000000E164: 820D0D80
	v_lshrrev_b32_e32 v64, 4, v0                               // 00000000E168: 20800084
	v_lshlrev_b32_e32 v64, 2, v64                              // 00000000E16C: 24808082
	v_and_b32_e32 v65, 3, v0                                   // 00000000E170: 26820083
	v_add_u32_e32 v64, v65, v64                                // 00000000E174: 68808141
	v_lshlrev_b32_e32 v59, 2, v64                              // 00000000E178: 24768082
	v_mov_b32_e32 v60, v59                                     // 00000000E17C: 7E78033B
	s_mul_i32 s60, s2, 64                                      // 00000000E180: 923CC002
	s_add_u32 s32, s60, s32                                    // 00000000E184: 8020203C
	s_addc_u32 s33, 0, s33                                     // 00000000E188: 82212180
	s_add_u32 s36, s60, s36                                    // 00000000E18C: 8024243C
	s_addc_u32 s37, 0, s37                                     // 00000000E190: 82252580
	s_mul_i32 s60, s2, s76                                     // 00000000E194: 923C4C02
	s_mul_i32 s61, s84, s75                                    // 00000000E198: 923D4B54
	s_add_u32 s60, s60, s61                                    // 00000000E19C: 803C3D3C
	s_add_u32 s8, s60, s8                                      // 00000000E1A0: 8008083C
	s_addc_u32 s9, 0, s9                                       // 00000000E1A4: 82090980
	s_mov_b32 s70, 0                                           // 00000000E1A8: BEC60080
	s_and_b32 s71, s72, 0xffffff00                             // 00000000E1AC: 8647FF48 FFFFFF00
	s_mov_b32 s42, 0xff00ff00                                  // 00000000E1B4: BEAA00FF FF00FF00
	s_mov_b32 s43, 0xff00ff00                                  // 00000000E1BC: BEAB00FF FF00FF00
	s_mov_b32 s44, 0xf0f0f0f0                                  // 00000000E1C4: BEAC00FF F0F0F0F0
	s_mov_b32 s45, 0xf0f0f0f0                                  // 00000000E1CC: BEAD00FF F0F0F0F0
	s_mov_b32 s78, 0xff00ff                                    // 00000000E1D4: BECE00FF 00FF00FF
	s_mov_b32 s79, 0xff00ff                                    // 00000000E1DC: BECF00FF 00FF00FF
	v_mul_i32_i24_e64 v63, 64, s66                             // 00000000E1E4: D106003F 000084C0
	v_mov_b32_e32 v54, s68                                     // 00000000E1EC: 7E6C0244
	s_mov_b32 s52, 0x7060302                                   // 00000000E1F0: BEB400FF 07060302
	s_mov_b32 s53, 0x400                                       // 00000000E1F8: BEB500FF 00000400
	s_mov_b32 s54, 0x40100                                     // 00000000E200: BEB600FF 00040100
	s_mov_b32 s55, 0x4020100                                   // 00000000E208: BEB700FF 04020100
	s_mov_b32 s6, 0x3fb8aa3b                                   // 00000000E210: BE8600FF 3FB8AA3B
	v_mov_b32_e32 v11, 0xff800000                              // 00000000E218: 7E1602FF FF800000
	v_mov_b32_e32 v12, 0xff800000                              // 00000000E220: 7E1802FF FF800000
	v_mov_b32_e32 v49, 0                                       // 00000000E228: 7E620280
	v_mov_b32_e32 v50, 0                                       // 00000000E22C: 7E640280
	v_mov_b32_e32 v51, 0                                       // 00000000E230: 7E660280
	v_mov_b32_e32 v38, 0                                       // 00000000E234: 7E4C0280
	v_mov_b32_e32 v39, 0                                       // 00000000E238: 7E4E0280
	v_mov_b32_e32 v40, 0                                       // 00000000E23C: 7E500280
	v_mov_b32_e32 v44, 0                                       // 00000000E240: 7E580280
	v_mov_b32_e32 v45, 0                                       // 00000000E244: 7E5A0280
	v_mov_b32_e32 v46, 0                                       // 00000000E248: 7E5C0280
	v_add_u32_e32 v1, s56, v1                                  // 00000000E24C: 68020238
	v_and_b32_e32 v7, 15, v0                                   // 00000000E250: 260E008F
	v_lshlrev_b32_e32 v7, 2, v7                                // 00000000E254: 240E0E82
	v_lshlrev_b32_e32 v8, 2, v0                                // 00000000E258: 24100082
	s_mul_i32 s60, 0x100, s7                                   // 00000000E25C: 923C07FF 00000100
	v_add_u32_e32 v8, s60, v8                                  // 00000000E264: 6810103C
	v_lshrrev_b32_e32 v64, 4, v0                               // 00000000E268: 20800084
	v_lshlrev_b32_e32 v65, 6, v64                              // 00000000E26C: 24828086
	v_and_b32_e32 v64, 15, v0                                  // 00000000E270: 2680008F
	v_lshlrev_b32_e32 v64, 1, v64                              // 00000000E274: 24808081
	v_add_u32_e32 v65, v64, v65                                // 00000000E278: 68828340
	v_lshlrev_b32_e32 v9, 2, v65                               // 00000000E27C: 24128282
	v_lshrrev_b32_e32 v64, 5, v0                               // 00000000E280: 20800085
	v_lshlrev_b32_e32 v65, 5, v64                              // 00000000E284: 24828085
	v_and_b32_e32 v64, 31, v0                                  // 00000000E288: 2680009F
	v_lshrrev_b32_e32 v66, 4, v64                              // 00000000E28C: 20848084
	v_add_u32_e32 v65, v66, v65                                // 00000000E290: 68828342
	v_and_b32_e32 v64, 15, v0                                  // 00000000E294: 2680008F
	v_lshlrev_b32_e32 v64, 1, v64                              // 00000000E298: 24808081
	v_add_u32_e32 v65, v64, v65                                // 00000000E29C: 68828340
	v_lshlrev_b32_e32 v64, 2, v65                              // 00000000E2A0: 24808282
	s_mul_i32 s60, 0x100, s7                                   // 00000000E2A4: 923C07FF 00000100
	v_add_u32_e64 v10, v64, s60                                // 00000000E2AC: D134000A 00007940
	v_lshlrev_b32_e32 v5, 4, v0                                // 00000000E2B4: 240A0084
	s_mul_i32 s60, s2, s69                                     // 00000000E2B8: 923C4502
	s_add_u32 s16, s60, s16                                    // 00000000E2BC: 8010103C
	s_addc_u32 s17, 0, s17                                     // 00000000E2C0: 82111180
	v_and_b32_e32 v64, 15, v0                                  // 00000000E2C4: 2680008F
	v_lshlrev_b32_e32 v6, 4, v64                               // 00000000E2C8: 240C8084
	s_mul_i32 s61, s2, s69                                     // 00000000E2CC: 923D4502
	s_mul_i32 s60, s7, 0x100                                   // 00000000E2D0: 923CFF07 00000100
	s_add_u32 s60, s60, s61                                    // 00000000E2D8: 803C3D3C
	s_add_u32 s20, s60, s20                                    // 00000000E2DC: 8014143C
	s_addc_u32 s21, 0, s21                                     // 00000000E2E0: 82151580
	s_waitcnt vmcnt(4)                                         // 00000000E2E4: BF8C0F74
	v_mul_u32_u24_dpp v64, v16, v54 row_newbcast:0 row_mask:0xf bank_mask:0xf// 00000000E2E8: 10806CFA FF015010
	v_mul_u32_u24_dpp v65, v16, v54 row_newbcast:4 row_mask:0xf bank_mask:0xf// 00000000E2F0: 10826CFA FF015410
	v_mul_u32_u24_dpp v66, v16, v54 row_newbcast:8 row_mask:0xf bank_mask:0xf// 00000000E2F8: 10846CFA FF015810
	v_mul_u32_u24_dpp v67, v16, v54 row_newbcast:12 row_mask:0xf bank_mask:0xf// 00000000E300: 10866CFA FF015C10
	v_add_u32_e32 v22, v64, v5                                 // 00000000E308: 682C0B40
	v_add_u32_e32 v23, v65, v5                                 // 00000000E30C: 682E0B41
	v_add_u32_e32 v24, v66, v5                                 // 00000000E310: 68300B42
	v_add_u32_e32 v25, v67, v5                                 // 00000000E314: 68320B43
	v_mul_u32_u24_dpp v64, v16, v54 row_newbcast:1 row_mask:0xf bank_mask:0xf// 00000000E318: 10806CFA FF015110
	v_mul_u32_u24_dpp v65, v16, v54 row_newbcast:5 row_mask:0xf bank_mask:0xf// 00000000E320: 10826CFA FF015510
	v_mul_u32_u24_dpp v66, v16, v54 row_newbcast:9 row_mask:0xf bank_mask:0xf// 00000000E328: 10846CFA FF015910
	v_mul_u32_u24_dpp v67, v16, v54 row_newbcast:13 row_mask:0xf bank_mask:0xf// 00000000E330: 10866CFA FF015D10
	v_add_u32_e32 v30, v64, v6                                 // 00000000E338: 683C0D40
	v_add_u32_e32 v31, v65, v6                                 // 00000000E33C: 683E0D41
	v_add_u32_e32 v32, v66, v6                                 // 00000000E340: 68400D42
	v_add_u32_e32 v33, v67, v6                                 // 00000000E344: 68420D43
	v_mul_u32_u24_dpp v64, v16, v63 quad_perm:[0,0,0,0] row_mask:0xf bank_mask:0xf// 00000000E348: 10807EFA FF000010
	v_add_u32_e32 v2, v64, v59                                 // 00000000E350: 68047740
	v_mul_u32_u24_dpp v64, v16, v63 quad_perm:[0,0,0,0] row_mask:0xf bank_mask:0xf// 00000000E354: 10807EFA FF000010
	v_add_u32_e32 v55, v64, v60                                // 00000000E35C: 686E7940
	buffer_load_dword v42, v2, s[32:35], 0 offen               // 00000000E360: E0501000 80082A02
	buffer_load_dwordx4 a[0:3], v22, s[16:19], 0 offen         // 00000000E368: E05C1000 80840016
	buffer_load_dwordx4 a[4:7], v22, s[16:19], 0 offen offset:1024// 00000000E370: E05C1400 80840416
	buffer_load_dwordx4 a[8:11], v23, s[16:19], 0 offen        // 00000000E378: E05C1000 80840817
	buffer_load_dwordx4 a[12:15], v23, s[16:19], 0 offen offset:1024// 00000000E380: E05C1400 80840C17
	buffer_load_dwordx4 a[16:19], v24, s[16:19], 0 offen       // 00000000E388: E05C1000 80841018
	buffer_load_dwordx4 a[20:23], v24, s[16:19], 0 offen offset:1024// 00000000E390: E05C1400 80841418
	buffer_load_dwordx4 a[24:27], v25, s[16:19], 0 offen       // 00000000E398: E05C1000 80841819
	buffer_load_dwordx4 a[28:31], v25, s[16:19], 0 offen offset:1024// 00000000E3A0: E05C1400 80841C19
	buffer_load_dword v57, v55, s[36:39], 0 offen              // 00000000E3A8: E0501000 80093937
	buffer_load_dwordx4 a[64:67], v30, s[20:23], 0 offen       // 00000000E3B0: E05C1000 8085401E
	buffer_load_dwordx4 a[68:71], v31, s[20:23], 0 offen       // 00000000E3B8: E05C1000 8085441F
	buffer_load_dwordx4 a[72:75], v32, s[20:23], 0 offen       // 00000000E3C0: E05C1000 80854820
	buffer_load_dwordx4 a[76:79], v33, s[20:23], 0 offen       // 00000000E3C8: E05C1000 80854C21
	buffer_load_dwordx4 a[80:83], v30, s[20:23], 0 offen offset:1024// 00000000E3D0: E05C1400 8085501E
	buffer_load_dwordx4 a[84:87], v31, s[20:23], 0 offen offset:1024// 00000000E3D8: E05C1400 8085541F
	buffer_load_dwordx4 a[88:91], v32, s[20:23], 0 offen offset:1024// 00000000E3E0: E05C1400 80855820
	buffer_load_dwordx4 a[92:95], v33, s[20:23], 0 offen offset:1024// 00000000E3E8: E05C1400 80855C21
	v_lshrrev_b32_e32 v64, 4, v0                               // 00000000E3F0: 20800084
	v_lshlrev_b32_e32 v65, 1, v64                              // 00000000E3F4: 24828081
	v_and_b32_e32 v64, 15, v0                                  // 00000000E3F8: 2680008F
	v_mul_i32_i24_e32 v64, 0x42, v64                           // 00000000E3FC: 0C8080FF 00000042
	v_add_u32_e32 v65, v64, v65                                // 00000000E404: 68828340
	v_lshlrev_b32_e32 v4, 2, v65                               // 00000000E408: 24088282
	s_mul_i32 s60, s7, 32                                      // 00000000E40C: 923CA007
	v_add_u32_e32 v4, s60, v4                                  // 00000000E410: 6808083C
	s_waitcnt vmcnt(16) lgkmcnt(0)                             // 00000000E414: BF8C4070
	s_barrier                                                  // 00000000E418: BF8A0000
	ds_read_b64 v[80:81], v4                                   // 00000000E41C: D8EC0000 50000004
	ds_read_b64 v[84:85], v4 offset:128                        // 00000000E424: D8EC0080 54000004
	s_waitcnt lgkmcnt(0)                                       // 00000000E42C: BF8CC07F
	v_and_b32_e32 v83, 0xffff0000, v81                         // 00000000E430: 26A6A2FF FFFF0000
	v_lshlrev_b32_e32 v82, 16, v81                             // 00000000E438: 24A4A290
	v_and_b32_e32 v81, 0xffff0000, v80                         // 00000000E43C: 26A2A0FF FFFF0000
	v_lshlrev_b32_e32 v80, 16, v80                             // 00000000E444: 24A0A090
	v_and_b32_e32 v87, 0xffff0000, v85                         // 00000000E448: 26AEAAFF FFFF0000
	v_lshlrev_b32_e32 v86, 16, v85                             // 00000000E450: 24ACAA90
	v_and_b32_e32 v85, 0xffff0000, v84                         // 00000000E454: 26AAA8FF FFFF0000
	v_lshlrev_b32_e32 v84, 16, v84                             // 00000000E45C: 24A8A890
	v_mov_b32_e32 v48, 0x358637bd                              // 00000000E460: 7E6002FF 358637BD
	v_max3_f32 v48, |v80|, |v81|, v48                          // 00000000E468: D1D30330 04C2A350
	v_max3_f32 v48, |v82|, |v83|, v48                          // 00000000E470: D1D30330 04C2A752
	v_max3_f32 v48, |v84|, |v85|, v48                          // 00000000E478: D1D30330 04C2AB54
	v_max3_f32 v48, |v86|, |v87|, v48                          // 00000000E480: D1D30330 04C2AF56
	ds_write_b32 v8, v48 offset:16896                          // 00000000E488: D81A4200 00003008
	s_waitcnt lgkmcnt(0)                                       // 00000000E490: BF8CC07F
	s_barrier                                                  // 00000000E494: BF8A0000
	ds_read_b32 v64, v7 offset:16896                           // 00000000E498: D86C4200 40000007
	ds_read_b32 v65, v7 offset:16960                           // 00000000E4A0: D86C4240 41000007
	ds_read_b32 v66, v7 offset:17024                           // 00000000E4A8: D86C4280 42000007
	ds_read_b32 v67, v7 offset:17088                           // 00000000E4B0: D86C42C0 43000007
	ds_read_b32 v68, v7 offset:17152                           // 00000000E4B8: D86C4300 44000007
	ds_read_b32 v69, v7 offset:17216                           // 00000000E4C0: D86C4340 45000007
	ds_read_b32 v70, v7 offset:17280                           // 00000000E4C8: D86C4380 46000007
	ds_read_b32 v71, v7 offset:17344                           // 00000000E4D0: D86C43C0 47000007
	ds_read_b32 v72, v7 offset:17408                           // 00000000E4D8: D86C4400 48000007
	ds_read_b32 v73, v7 offset:17472                           // 00000000E4E0: D86C4440 49000007
	ds_read_b32 v74, v7 offset:17536                           // 00000000E4E8: D86C4480 4A000007
	ds_read_b32 v75, v7 offset:17600                           // 00000000E4F0: D86C44C0 4B000007
	ds_read_b32 v76, v7 offset:17664                           // 00000000E4F8: D86C4500 4C000007
	ds_read_b32 v77, v7 offset:17728                           // 00000000E500: D86C4540 4D000007
	ds_read_b32 v78, v7 offset:17792                           // 00000000E508: D86C4580 4E000007
	ds_read_b32 v79, v7 offset:17856                           // 00000000E510: D86C45C0 4F000007
	s_waitcnt lgkmcnt(0)                                       // 00000000E518: BF8CC07F
	v_max3_f32 v48, |v64|, |v65|, v48                          // 00000000E51C: D1D30330 04C28340
	v_max3_f32 v48, |v66|, |v67|, v48                          // 00000000E524: D1D30330 04C28742
	v_max3_f32 v48, |v68|, |v69|, v48                          // 00000000E52C: D1D30330 04C28B44
	v_max3_f32 v48, |v70|, |v71|, v48                          // 00000000E534: D1D30330 04C28F46
	v_max3_f32 v48, |v72|, |v73|, v48                          // 00000000E53C: D1D30330 04C29348
	v_max3_f32 v48, |v74|, |v75|, v48                          // 00000000E544: D1D30330 04C2974A
	v_max3_f32 v48, |v76|, |v77|, v48                          // 00000000E54C: D1D30330 04C29B4C
	v_max3_f32 v48, |v78|, |v79|, v48                          // 00000000E554: D1D30330 04C29F4E
	v_rcp_f32_e32 v48, v48                                     // 00000000E55C: 7E604530
	s_nop 1                                                    // 00000000E560: BF800001
	v_mul_f32_e32 v48, 0x43e00000, v48                         // 00000000E564: 0A6060FF 43E00000
	v_mul_f32_e32 v80, v48, v80                                // 00000000E56C: 0AA0A130
	v_mul_f32_e32 v81, v48, v81                                // 00000000E570: 0AA2A330
	v_mul_f32_e32 v82, v48, v82                                // 00000000E574: 0AA4A530
	v_mul_f32_e32 v83, v48, v83                                // 00000000E578: 0AA6A730
	v_mul_f32_e32 v84, v48, v84                                // 00000000E57C: 0AA8A930
	v_mul_f32_e32 v85, v48, v85                                // 00000000E580: 0AAAAB30
	v_mul_f32_e32 v86, v48, v86                                // 00000000E584: 0AACAD30
	v_mul_f32_e32 v87, v48, v87                                // 00000000E588: 0AAEAF30
	v_rcp_f32_e32 v18, v48                                     // 00000000E58C: 7E244530
	v_cvt_pk_fp8_f32 v80, v80, v81                             // 00000000E590: D2A20050 0002A350
	v_cvt_pk_fp8_f32 v80, v82, v83 op_sel:[0,0,1]              // 00000000E598: D2A24050 0002A752
	v_cvt_pk_fp8_f32 v81, v84, v85                             // 00000000E5A0: D2A20051 0002AB54
	v_cvt_pk_fp8_f32 v81, v86, v87 op_sel:[0,0,1]              // 00000000E5A8: D2A24051 0002AF56
	ds_write_b32 v10, v80 offset:25088                         // 00000000E5B0: D81A6200 0000500A
	ds_write_b32 v10, v81 offset:26112                         // 00000000E5B8: D81A6600 0000510A
	s_waitcnt lgkmcnt(0)                                       // 00000000E5C0: BF8CC07F
	s_barrier                                                  // 00000000E5C4: BF8A0000
	ds_read_b64 v[80:81], v9 offset:25088                      // 00000000E5C8: D8EC6200 50000009
	ds_read_b64 v[82:83], v9 offset:25216                      // 00000000E5D0: D8EC6280 52000009
	ds_read_b64 v[84:85], v9 offset:26112                      // 00000000E5D8: D8EC6600 54000009
	ds_read_b64 v[86:87], v9 offset:26240                      // 00000000E5E0: D8EC6680 56000009
	v_mov_b32_e32 v208, 0                                      // 00000000E5E8: 7FA00280
	v_mov_b32_e32 v209, 0                                      // 00000000E5EC: 7FA20280
	v_mov_b32_e32 v210, 0                                      // 00000000E5F0: 7FA40280
	v_mov_b32_e32 v211, 0                                      // 00000000E5F4: 7FA60280
	v_mov_b32_e32 v212, 0                                      // 00000000E5F8: 7FA80280
	v_mov_b32_e32 v213, 0                                      // 00000000E5FC: 7FAA0280
	v_mov_b32_e32 v214, 0                                      // 00000000E600: 7FAC0280
	v_mov_b32_e32 v215, 0                                      // 00000000E604: 7FAE0280
	v_mov_b32_e32 v176, 0                                      // 00000000E608: 7F600280
	v_mov_b32_e32 v177, 0                                      // 00000000E60C: 7F620280
	v_mov_b32_e32 v178, 0                                      // 00000000E610: 7F640280
	v_mov_b32_e32 v179, 0                                      // 00000000E614: 7F660280
	v_mov_b32_e32 v180, 0                                      // 00000000E618: 7F680280
	v_mov_b32_e32 v181, 0                                      // 00000000E61C: 7F6A0280
	v_mov_b32_e32 v182, 0                                      // 00000000E620: 7F6C0280
	v_mov_b32_e32 v183, 0                                      // 00000000E624: 7F6E0280
	ds_read_b64 v[88:89], v4 offset:4224                       // 00000000E628: D8EC1080 58000004
	ds_read_b64 v[92:93], v4 offset:4352                       // 00000000E630: D8EC1100 5C000004
	s_waitcnt lgkmcnt(0)                                       // 00000000E638: BF8CC07F
	v_and_b32_e32 v91, 0xffff0000, v89                         // 00000000E63C: 26B6B2FF FFFF0000
	v_lshlrev_b32_e32 v90, 16, v89                             // 00000000E644: 24B4B290
	v_and_b32_e32 v89, 0xffff0000, v88                         // 00000000E648: 26B2B0FF FFFF0000
	v_lshlrev_b32_e32 v88, 16, v88                             // 00000000E650: 24B0B090
	v_and_b32_e32 v95, 0xffff0000, v93                         // 00000000E654: 26BEBAFF FFFF0000
	v_lshlrev_b32_e32 v94, 16, v93                             // 00000000E65C: 24BCBA90
	v_and_b32_e32 v93, 0xffff0000, v92                         // 00000000E660: 26BAB8FF FFFF0000
	v_lshlrev_b32_e32 v92, 16, v92                             // 00000000E668: 24B8B890
	v_mov_b32_e32 v48, 0x358637bd                              // 00000000E66C: 7E6002FF 358637BD
	v_max3_f32 v48, |v88|, |v89|, v48                          // 00000000E674: D1D30330 04C2B358
	v_max3_f32 v48, |v90|, |v91|, v48                          // 00000000E67C: D1D30330 04C2B75A
	v_max3_f32 v48, |v92|, |v93|, v48                          // 00000000E684: D1D30330 04C2BB5C
	v_max3_f32 v48, |v94|, |v95|, v48                          // 00000000E68C: D1D30330 04C2BF5E
	ds_write_b32 v8, v48 offset:16896                          // 00000000E694: D81A4200 00003008
	s_waitcnt lgkmcnt(0)                                       // 00000000E69C: BF8CC07F
	s_barrier                                                  // 00000000E6A0: BF8A0000
	ds_read_b32 v64, v7 offset:16896                           // 00000000E6A4: D86C4200 40000007
	ds_read_b32 v65, v7 offset:16960                           // 00000000E6AC: D86C4240 41000007
	ds_read_b32 v66, v7 offset:17024                           // 00000000E6B4: D86C4280 42000007
	ds_read_b32 v67, v7 offset:17088                           // 00000000E6BC: D86C42C0 43000007
	ds_read_b32 v68, v7 offset:17152                           // 00000000E6C4: D86C4300 44000007
	ds_read_b32 v69, v7 offset:17216                           // 00000000E6CC: D86C4340 45000007
	ds_read_b32 v70, v7 offset:17280                           // 00000000E6D4: D86C4380 46000007
	ds_read_b32 v71, v7 offset:17344                           // 00000000E6DC: D86C43C0 47000007
	ds_read_b32 v72, v7 offset:17408                           // 00000000E6E4: D86C4400 48000007
	ds_read_b32 v73, v7 offset:17472                           // 00000000E6EC: D86C4440 49000007
	ds_read_b32 v74, v7 offset:17536                           // 00000000E6F4: D86C4480 4A000007
	ds_read_b32 v75, v7 offset:17600                           // 00000000E6FC: D86C44C0 4B000007
	ds_read_b32 v76, v7 offset:17664                           // 00000000E704: D86C4500 4C000007
	ds_read_b32 v77, v7 offset:17728                           // 00000000E70C: D86C4540 4D000007
	ds_read_b32 v78, v7 offset:17792                           // 00000000E714: D86C4580 4E000007
	ds_read_b32 v79, v7 offset:17856                           // 00000000E71C: D86C45C0 4F000007
	s_waitcnt lgkmcnt(0)                                       // 00000000E724: BF8CC07F
	v_max3_f32 v48, |v64|, |v65|, v48                          // 00000000E728: D1D30330 04C28340
	v_max3_f32 v48, |v66|, |v67|, v48                          // 00000000E730: D1D30330 04C28742
	v_max3_f32 v48, |v68|, |v69|, v48                          // 00000000E738: D1D30330 04C28B44
	v_max3_f32 v48, |v70|, |v71|, v48                          // 00000000E740: D1D30330 04C28F46
	v_max3_f32 v48, |v72|, |v73|, v48                          // 00000000E748: D1D30330 04C29348
	v_max3_f32 v48, |v74|, |v75|, v48                          // 00000000E750: D1D30330 04C2974A
	v_max3_f32 v48, |v76|, |v77|, v48                          // 00000000E758: D1D30330 04C29B4C
	v_max3_f32 v48, |v78|, |v79|, v48                          // 00000000E760: D1D30330 04C29F4E
	v_rcp_f32_e32 v48, v48                                     // 00000000E768: 7E604530
	s_nop 1                                                    // 00000000E76C: BF800001
	v_mul_f32_e32 v48, 0x43e00000, v48                         // 00000000E770: 0A6060FF 43E00000
	v_mul_f32_e32 v88, v48, v88                                // 00000000E778: 0AB0B130
	v_mul_f32_e32 v89, v48, v89                                // 00000000E77C: 0AB2B330
	v_mul_f32_e32 v90, v48, v90                                // 00000000E780: 0AB4B530
	v_mul_f32_e32 v91, v48, v91                                // 00000000E784: 0AB6B730
	v_mul_f32_e32 v92, v48, v92                                // 00000000E788: 0AB8B930
	v_mul_f32_e32 v93, v48, v93                                // 00000000E78C: 0ABABB30
	v_mul_f32_e32 v94, v48, v94                                // 00000000E790: 0ABCBD30
	v_mul_f32_e32 v95, v48, v95                                // 00000000E794: 0ABEBF30
	v_rcp_f32_e32 v19, v48                                     // 00000000E798: 7E264530
	v_cvt_pk_fp8_f32 v88, v88, v89                             // 00000000E79C: D2A20058 0002B358
	v_cvt_pk_fp8_f32 v88, v90, v91 op_sel:[0,0,1]              // 00000000E7A4: D2A24058 0002B75A
	v_cvt_pk_fp8_f32 v89, v92, v93                             // 00000000E7AC: D2A20059 0002BB5C
	v_cvt_pk_fp8_f32 v89, v94, v95 op_sel:[0,0,1]              // 00000000E7B4: D2A24059 0002BF5E
	ds_write_b32 v10, v88 offset:25088                         // 00000000E7BC: D81A6200 0000580A
	ds_write_b32 v10, v89 offset:26112                         // 00000000E7C4: D81A6600 0000590A
	s_waitcnt lgkmcnt(0)                                       // 00000000E7CC: BF8CC07F
	s_barrier                                                  // 00000000E7D0: BF8A0000
	ds_read_b64 v[88:89], v9 offset:25088                      // 00000000E7D4: D8EC6200 58000009
	ds_read_b64 v[90:91], v9 offset:25216                      // 00000000E7DC: D8EC6280 5A000009
	ds_read_b64 v[92:93], v9 offset:26112                      // 00000000E7E4: D8EC6600 5C000009
	ds_read_b64 v[94:95], v9 offset:26240                      // 00000000E7EC: D8EC6680 5E000009
	v_mov_b32_e32 v216, 0                                      // 00000000E7F4: 7FB00280
	v_mov_b32_e32 v217, 0                                      // 00000000E7F8: 7FB20280
	v_mov_b32_e32 v218, 0                                      // 00000000E7FC: 7FB40280
	v_mov_b32_e32 v219, 0                                      // 00000000E800: 7FB60280
	v_mov_b32_e32 v220, 0                                      // 00000000E804: 7FB80280
	v_mov_b32_e32 v221, 0                                      // 00000000E808: 7FBA0280
	v_mov_b32_e32 v222, 0                                      // 00000000E80C: 7FBC0280
	v_mov_b32_e32 v223, 0                                      // 00000000E810: 7FBE0280
	v_mov_b32_e32 v184, 0                                      // 00000000E814: 7F700280
	v_mov_b32_e32 v185, 0                                      // 00000000E818: 7F720280
	v_mov_b32_e32 v186, 0                                      // 00000000E81C: 7F740280
	v_mov_b32_e32 v187, 0                                      // 00000000E820: 7F760280
	v_mov_b32_e32 v188, 0                                      // 00000000E824: 7F780280
	v_mov_b32_e32 v189, 0                                      // 00000000E828: 7F7A0280
	v_mov_b32_e32 v190, 0                                      // 00000000E82C: 7F7C0280
	v_mov_b32_e32 v191, 0                                      // 00000000E830: 7F7E0280
	ds_read_b64 v[96:97], v4 offset:8448                       // 00000000E834: D8EC2100 60000004
	ds_read_b64 v[100:101], v4 offset:8576                     // 00000000E83C: D8EC2180 64000004
	s_waitcnt lgkmcnt(0)                                       // 00000000E844: BF8CC07F
	v_and_b32_e32 v99, 0xffff0000, v97                         // 00000000E848: 26C6C2FF FFFF0000
	v_lshlrev_b32_e32 v98, 16, v97                             // 00000000E850: 24C4C290
	v_and_b32_e32 v97, 0xffff0000, v96                         // 00000000E854: 26C2C0FF FFFF0000
	v_lshlrev_b32_e32 v96, 16, v96                             // 00000000E85C: 24C0C090
	v_and_b32_e32 v103, 0xffff0000, v101                       // 00000000E860: 26CECAFF FFFF0000
	v_lshlrev_b32_e32 v102, 16, v101                           // 00000000E868: 24CCCA90
	v_and_b32_e32 v101, 0xffff0000, v100                       // 00000000E86C: 26CAC8FF FFFF0000
	v_lshlrev_b32_e32 v100, 16, v100                           // 00000000E874: 24C8C890
	v_mov_b32_e32 v48, 0x358637bd                              // 00000000E878: 7E6002FF 358637BD
	v_max3_f32 v48, |v96|, |v97|, v48                          // 00000000E880: D1D30330 04C2C360
	v_max3_f32 v48, |v98|, |v99|, v48                          // 00000000E888: D1D30330 04C2C762
	v_max3_f32 v48, |v100|, |v101|, v48                        // 00000000E890: D1D30330 04C2CB64
	v_max3_f32 v48, |v102|, |v103|, v48                        // 00000000E898: D1D30330 04C2CF66
	ds_write_b32 v8, v48 offset:16896                          // 00000000E8A0: D81A4200 00003008
	s_waitcnt lgkmcnt(0)                                       // 00000000E8A8: BF8CC07F
	s_barrier                                                  // 00000000E8AC: BF8A0000
	ds_read_b32 v64, v7 offset:16896                           // 00000000E8B0: D86C4200 40000007
	ds_read_b32 v65, v7 offset:16960                           // 00000000E8B8: D86C4240 41000007
	ds_read_b32 v66, v7 offset:17024                           // 00000000E8C0: D86C4280 42000007
	ds_read_b32 v67, v7 offset:17088                           // 00000000E8C8: D86C42C0 43000007
	ds_read_b32 v68, v7 offset:17152                           // 00000000E8D0: D86C4300 44000007
	ds_read_b32 v69, v7 offset:17216                           // 00000000E8D8: D86C4340 45000007
	ds_read_b32 v70, v7 offset:17280                           // 00000000E8E0: D86C4380 46000007
	ds_read_b32 v71, v7 offset:17344                           // 00000000E8E8: D86C43C0 47000007
	ds_read_b32 v72, v7 offset:17408                           // 00000000E8F0: D86C4400 48000007
	ds_read_b32 v73, v7 offset:17472                           // 00000000E8F8: D86C4440 49000007
	ds_read_b32 v74, v7 offset:17536                           // 00000000E900: D86C4480 4A000007
	ds_read_b32 v75, v7 offset:17600                           // 00000000E908: D86C44C0 4B000007
	ds_read_b32 v76, v7 offset:17664                           // 00000000E910: D86C4500 4C000007
	ds_read_b32 v77, v7 offset:17728                           // 00000000E918: D86C4540 4D000007
	ds_read_b32 v78, v7 offset:17792                           // 00000000E920: D86C4580 4E000007
	ds_read_b32 v79, v7 offset:17856                           // 00000000E928: D86C45C0 4F000007
	s_waitcnt lgkmcnt(0)                                       // 00000000E930: BF8CC07F
	v_max3_f32 v48, |v64|, |v65|, v48                          // 00000000E934: D1D30330 04C28340
	v_max3_f32 v48, |v66|, |v67|, v48                          // 00000000E93C: D1D30330 04C28742
	v_max3_f32 v48, |v68|, |v69|, v48                          // 00000000E944: D1D30330 04C28B44
	v_max3_f32 v48, |v70|, |v71|, v48                          // 00000000E94C: D1D30330 04C28F46
	v_max3_f32 v48, |v72|, |v73|, v48                          // 00000000E954: D1D30330 04C29348
	v_max3_f32 v48, |v74|, |v75|, v48                          // 00000000E95C: D1D30330 04C2974A
	v_max3_f32 v48, |v76|, |v77|, v48                          // 00000000E964: D1D30330 04C29B4C
	v_max3_f32 v48, |v78|, |v79|, v48                          // 00000000E96C: D1D30330 04C29F4E
	v_rcp_f32_e32 v48, v48                                     // 00000000E974: 7E604530
	s_nop 1                                                    // 00000000E978: BF800001
	v_mul_f32_e32 v48, 0x43e00000, v48                         // 00000000E97C: 0A6060FF 43E00000
	v_mul_f32_e32 v96, v48, v96                                // 00000000E984: 0AC0C130
	v_mul_f32_e32 v97, v48, v97                                // 00000000E988: 0AC2C330
	v_mul_f32_e32 v98, v48, v98                                // 00000000E98C: 0AC4C530
	v_mul_f32_e32 v99, v48, v99                                // 00000000E990: 0AC6C730
	v_mul_f32_e32 v100, v48, v100                              // 00000000E994: 0AC8C930
	v_mul_f32_e32 v101, v48, v101                              // 00000000E998: 0ACACB30
	v_mul_f32_e32 v102, v48, v102                              // 00000000E99C: 0ACCCD30
	v_mul_f32_e32 v103, v48, v103                              // 00000000E9A0: 0ACECF30
	v_rcp_f32_e32 v20, v48                                     // 00000000E9A4: 7E284530
	v_cvt_pk_fp8_f32 v96, v96, v97                             // 00000000E9A8: D2A20060 0002C360
	v_cvt_pk_fp8_f32 v96, v98, v99 op_sel:[0,0,1]              // 00000000E9B0: D2A24060 0002C762
	v_cvt_pk_fp8_f32 v97, v100, v101                           // 00000000E9B8: D2A20061 0002CB64
	v_cvt_pk_fp8_f32 v97, v102, v103 op_sel:[0,0,1]            // 00000000E9C0: D2A24061 0002CF66
	ds_write_b32 v10, v96 offset:25088                         // 00000000E9C8: D81A6200 0000600A
	ds_write_b32 v10, v97 offset:26112                         // 00000000E9D0: D81A6600 0000610A
	s_waitcnt lgkmcnt(0)                                       // 00000000E9D8: BF8CC07F
	s_barrier                                                  // 00000000E9DC: BF8A0000
	ds_read_b64 v[96:97], v9 offset:25088                      // 00000000E9E0: D8EC6200 60000009
	ds_read_b64 v[98:99], v9 offset:25216                      // 00000000E9E8: D8EC6280 62000009
	ds_read_b64 v[100:101], v9 offset:26112                    // 00000000E9F0: D8EC6600 64000009
	ds_read_b64 v[102:103], v9 offset:26240                    // 00000000E9F8: D8EC6680 66000009
	v_mov_b32_e32 v224, 0                                      // 00000000EA00: 7FC00280
	v_mov_b32_e32 v225, 0                                      // 00000000EA04: 7FC20280
	v_mov_b32_e32 v226, 0                                      // 00000000EA08: 7FC40280
	v_mov_b32_e32 v227, 0                                      // 00000000EA0C: 7FC60280
	v_mov_b32_e32 v228, 0                                      // 00000000EA10: 7FC80280
	v_mov_b32_e32 v229, 0                                      // 00000000EA14: 7FCA0280
	v_mov_b32_e32 v230, 0                                      // 00000000EA18: 7FCC0280
	v_mov_b32_e32 v231, 0                                      // 00000000EA1C: 7FCE0280
	v_mov_b32_e32 v192, 0                                      // 00000000EA20: 7F800280
	v_mov_b32_e32 v193, 0                                      // 00000000EA24: 7F820280
	v_mov_b32_e32 v194, 0                                      // 00000000EA28: 7F840280
	v_mov_b32_e32 v195, 0                                      // 00000000EA2C: 7F860280
	v_mov_b32_e32 v196, 0                                      // 00000000EA30: 7F880280
	v_mov_b32_e32 v197, 0                                      // 00000000EA34: 7F8A0280
	v_mov_b32_e32 v198, 0                                      // 00000000EA38: 7F8C0280
	v_mov_b32_e32 v199, 0                                      // 00000000EA3C: 7F8E0280
	s_waitcnt vmcnt(8) lgkmcnt(0)                              // 00000000EA40: BF8C0078
	s_barrier                                                  // 00000000EA44: BF8A0000
	s_cmp_lt_u32 s73, 16                                       // 00000000EA48: BF0A9049
	s_cbranch_scc1 label_4AF3                                  // 00000000EA4C: BF8518DF
	s_cmp_lt_i32 s7, 2                                         // 00000000EA50: BF048207
	s_cbranch_scc0 label_3E86                                  // 00000000EA54: BF840C70

000000000000ea58 <label_3216>:
	s_waitcnt vmcnt(8) lgkmcnt(0)                              // 00000000EA58: BF8C0078
	v_mul_u32_u24_dpp v64, v17, v54 row_newbcast:0 row_mask:0xf bank_mask:0xf// 00000000EA5C: 10806CFA FF015011
	v_mul_u32_u24_dpp v65, v17, v54 row_newbcast:4 row_mask:0xf bank_mask:0xf// 00000000EA64: 10826CFA FF015411
	v_mul_u32_u24_dpp v66, v17, v54 row_newbcast:8 row_mask:0xf bank_mask:0xf// 00000000EA6C: 10846CFA FF015811
	v_mul_u32_u24_dpp v67, v17, v54 row_newbcast:12 row_mask:0xf bank_mask:0xf// 00000000EA74: 10866CFA FF015C11
	v_add_u32_e32 v26, v64, v5                                 // 00000000EA7C: 68340B40
	v_add_u32_e32 v27, v65, v5                                 // 00000000EA80: 68360B41
	v_add_u32_e32 v28, v66, v5                                 // 00000000EA84: 68380B42
	v_add_u32_e32 v29, v67, v5                                 // 00000000EA88: 683A0B43
	v_mul_u32_u24_dpp v64, v17, v63 quad_perm:[0,0,0,0] row_mask:0xf bank_mask:0xf// 00000000EA8C: 10807EFA FF000011
	v_add_u32_e32 v3, v64, v59                                 // 00000000EA94: 68067740
	v_mul_u32_u24_dpp v64, v17, v63 quad_perm:[0,0,0,0] row_mask:0xf bank_mask:0xf// 00000000EA98: 10807EFA FF000011
	v_add_u32_e32 v56, v64, v60                                // 00000000EAA0: 68707940
	v_mfma_f32_16x16x32_fp8_fp8 v[112:115], a[0:1], v[80:81], 0// 00000000EAA4: D3F30070 0A02A100
	v_mfma_f32_16x16x32_fp8_fp8 v[112:115], a[2:3], v[82:83], v[112:115]// 00000000EAAC: D3F30070 0DC2A502
	buffer_load_dwordx4 a[32:35], v26, s[16:19], 0 offen       // 00000000EAB4: E05C1000 8084201A
	v_mfma_f32_16x16x32_fp8_fp8 v[112:115], a[4:5], v[84:85], v[112:115]// 00000000EABC: D3F30070 0DC2A904
	v_mfma_f32_16x16x32_fp8_fp8 v[112:115], a[6:7], v[86:87], v[112:115]// 00000000EAC4: D3F30070 0DC2AD06
	buffer_load_dword v16, v1, s[24:27], 0 offen               // 00000000EACC: E0501000 80061001
	v_mfma_f32_16x16x32_fp8_fp8 v[116:119], a[8:9], v[80:81], 0// 00000000EAD4: D3F30074 0A02A108
	v_mfma_f32_16x16x32_fp8_fp8 v[116:119], a[10:11], v[82:83], v[116:119]// 00000000EADC: D3F30074 0DD2A50A
	buffer_load_dwordx4 a[36:39], v26, s[16:19], 0 offen offset:1024// 00000000EAE4: E05C1400 8084241A
	v_mfma_f32_16x16x32_fp8_fp8 v[116:119], a[12:13], v[84:85], v[116:119]// 00000000EAEC: D3F30074 0DD2A90C
	v_mfma_f32_16x16x32_fp8_fp8 v[116:119], a[14:15], v[86:87], v[116:119]// 00000000EAF4: D3F30074 0DD2AD0E
	v_mfma_f32_16x16x32_fp8_fp8 v[120:123], a[16:17], v[80:81], 0// 00000000EAFC: D3F30078 0A02A110
	v_mfma_f32_16x16x32_fp8_fp8 v[120:123], a[18:19], v[82:83], v[120:123]// 00000000EB04: D3F30078 0DE2A512
	buffer_load_dwordx4 a[40:43], v27, s[16:19], 0 offen       // 00000000EB0C: E05C1000 8084281B
	v_mfma_f32_16x16x32_fp8_fp8 v[120:123], a[20:21], v[84:85], v[120:123]// 00000000EB14: D3F30078 0DE2A914
	v_mfma_f32_16x16x32_fp8_fp8 v[120:123], a[22:23], v[86:87], v[120:123]// 00000000EB1C: D3F30078 0DE2AD16
	v_mfma_f32_16x16x32_fp8_fp8 v[124:127], a[24:25], v[80:81], 0// 00000000EB24: D3F3007C 0A02A118
	v_mfma_f32_16x16x32_fp8_fp8 v[124:127], a[26:27], v[82:83], v[124:127]// 00000000EB2C: D3F3007C 0DF2A51A
	buffer_load_dwordx4 a[44:47], v27, s[16:19], 0 offen offset:1024// 00000000EB34: E05C1400 80842C1B
	v_mfma_f32_16x16x32_fp8_fp8 v[124:127], a[28:29], v[84:85], v[124:127]// 00000000EB3C: D3F3007C 0DF2A91C
	v_mfma_f32_16x16x32_fp8_fp8 v[124:127], a[30:31], v[86:87], v[124:127]// 00000000EB44: D3F3007C 0DF2AD1E
	v_mfma_f32_16x16x32_fp8_fp8 v[128:131], a[0:1], v[88:89], 0// 00000000EB4C: D3F30080 0A02B100
	v_mfma_f32_16x16x32_fp8_fp8 v[128:131], a[2:3], v[90:91], v[128:131]// 00000000EB54: D3F30080 0E02B502
	v_mfma_f32_16x16x32_fp8_fp8 v[128:131], a[4:5], v[92:93], v[128:131]// 00000000EB5C: D3F30080 0E02B904
	v_mfma_f32_16x16x32_fp8_fp8 v[128:131], a[6:7], v[94:95], v[128:131]// 00000000EB64: D3F30080 0E02BD06
	v_mfma_f32_16x16x32_fp8_fp8 v[132:135], a[8:9], v[88:89], 0// 00000000EB6C: D3F30084 0A02B108
	v_mfma_f32_16x16x32_fp8_fp8 v[132:135], a[10:11], v[90:91], v[132:135]// 00000000EB74: D3F30084 0E12B50A
	v_mfma_f32_16x16x32_fp8_fp8 v[132:135], a[12:13], v[92:93], v[132:135]// 00000000EB7C: D3F30084 0E12B90C
	v_mfma_f32_16x16x32_fp8_fp8 v[132:135], a[14:15], v[94:95], v[132:135]// 00000000EB84: D3F30084 0E12BD0E
	v_mfma_f32_16x16x32_fp8_fp8 v[136:139], a[16:17], v[88:89], 0// 00000000EB8C: D3F30088 0A02B110
	v_mfma_f32_16x16x32_fp8_fp8 v[136:139], a[18:19], v[90:91], v[136:139]// 00000000EB94: D3F30088 0E22B512
	v_mfma_f32_16x16x32_fp8_fp8 v[136:139], a[20:21], v[92:93], v[136:139]// 00000000EB9C: D3F30088 0E22B914
	v_mfma_f32_16x16x32_fp8_fp8 v[136:139], a[22:23], v[94:95], v[136:139]// 00000000EBA4: D3F30088 0E22BD16
	v_mfma_f32_16x16x32_fp8_fp8 v[140:143], a[24:25], v[88:89], 0// 00000000EBAC: D3F3008C 0A02B118
	v_mfma_f32_16x16x32_fp8_fp8 v[140:143], a[26:27], v[90:91], v[140:143]// 00000000EBB4: D3F3008C 0E32B51A
	v_mfma_f32_16x16x32_fp8_fp8 v[140:143], a[28:29], v[92:93], v[140:143]// 00000000EBBC: D3F3008C 0E32B91C
	v_mfma_f32_16x16x32_fp8_fp8 v[140:143], a[30:31], v[94:95], v[140:143]// 00000000EBC4: D3F3008C 0E32BD1E
	v_mfma_f32_16x16x32_fp8_fp8 v[144:147], a[0:1], v[96:97], 0// 00000000EBCC: D3F30090 0A02C100
	v_mfma_f32_16x16x32_fp8_fp8 v[144:147], a[2:3], v[98:99], v[144:147]// 00000000EBD4: D3F30090 0E42C502
	v_mfma_f32_16x16x32_fp8_fp8 v[144:147], a[4:5], v[100:101], v[144:147]// 00000000EBDC: D3F30090 0E42C904
	v_mfma_f32_16x16x32_fp8_fp8 v[144:147], a[6:7], v[102:103], v[144:147]// 00000000EBE4: D3F30090 0E42CD06
	v_mfma_f32_16x16x32_fp8_fp8 v[148:151], a[8:9], v[96:97], 0// 00000000EBEC: D3F30094 0A02C108
	v_mfma_f32_16x16x32_fp8_fp8 v[148:151], a[10:11], v[98:99], v[148:151]// 00000000EBF4: D3F30094 0E52C50A
	v_mfma_f32_16x16x32_fp8_fp8 v[148:151], a[12:13], v[100:101], v[148:151]// 00000000EBFC: D3F30094 0E52C90C
	v_mfma_f32_16x16x32_fp8_fp8 v[148:151], a[14:15], v[102:103], v[148:151]// 00000000EC04: D3F30094 0E52CD0E
	v_mfma_f32_16x16x32_fp8_fp8 v[152:155], a[16:17], v[96:97], 0// 00000000EC0C: D3F30098 0A02C110
	v_mfma_f32_16x16x32_fp8_fp8 v[152:155], a[18:19], v[98:99], v[152:155]// 00000000EC14: D3F30098 0E62C512
	v_mfma_f32_16x16x32_fp8_fp8 v[152:155], a[20:21], v[100:101], v[152:155]// 00000000EC1C: D3F30098 0E62C914
	v_mfma_f32_16x16x32_fp8_fp8 v[152:155], a[22:23], v[102:103], v[152:155]// 00000000EC24: D3F30098 0E62CD16
	v_mfma_f32_16x16x32_fp8_fp8 v[156:159], a[24:25], v[96:97], 0// 00000000EC2C: D3F3009C 0A02C118
	v_mfma_f32_16x16x32_fp8_fp8 v[156:159], a[26:27], v[98:99], v[156:159]// 00000000EC34: D3F3009C 0E72C51A
	v_mfma_f32_16x16x32_fp8_fp8 v[156:159], a[28:29], v[100:101], v[156:159]// 00000000EC3C: D3F3009C 0E72C91C
	v_mfma_f32_16x16x32_fp8_fp8 v[156:159], a[30:31], v[102:103], v[156:159]// 00000000EC44: D3F3009C 0E72CD1E
	buffer_load_dword v43, v3, s[32:35], 0 offen               // 00000000EC4C: E0501000 80082B03
	v_mov_b32_dpp v64, v42 row_shr:4 row_mask:0xf bank_mask:0xf// 00000000EC54: 7E8002FA FF01142A
	v_mov_b32_dpp v65, v42 row_shl:4 row_mask:0xf bank_mask:0xf// 00000000EC5C: 7E8202FA FF01042A
	v_cndmask_b32_e64 v248, v42, v64, s[44:45]                 // 00000000EC64: D10000F8 00B2812A
	v_cndmask_b32_e64 v249, v65, v42, s[44:45]                 // 00000000EC6C: D10000F9 00B25541
	v_mov_b32_dpp v64, v248 row_shr:8 row_mask:0xf bank_mask:0xf// 00000000EC74: 7E8002FA FF0118F8
	v_mov_b32_dpp v65, v248 row_shl:8 row_mask:0xf bank_mask:0xf// 00000000EC7C: 7E8202FA FF0108F8
	v_mov_b32_dpp v66, v249 row_shr:8 row_mask:0xf bank_mask:0xf// 00000000EC84: 7E8402FA FF0118F9
	v_mov_b32_dpp v67, v249 row_shl:8 row_mask:0xf bank_mask:0xf// 00000000EC8C: 7E8602FA FF0108F9
	v_mov_b32_e32 v68, v248                                    // 00000000EC94: 7E8803F8
	v_mov_b32_e32 v69, v249                                    // 00000000EC98: 7E8A03F9
	v_cndmask_b32_e64 v248, v68, v64, s[42:43]                 // 00000000EC9C: D10000F8 00AA8144
	v_cndmask_b32_e64 v250, v68, v65, s[78:79]                 // 00000000ECA4: D10000FA 013A8344
	v_cndmask_b32_e64 v249, v69, v66, s[42:43]                 // 00000000ECAC: D10000F9 00AA8545
	v_cndmask_b32_e64 v251, v69, v67, s[78:79]                 // 00000000ECB4: D10000FB 013A8745
	v_mov_b32_dpp v64, v57 row_shr:4 row_mask:0xf bank_mask:0xf// 00000000ECBC: 7E8002FA FF011439
	v_mov_b32_dpp v65, v57 row_shl:4 row_mask:0xf bank_mask:0xf// 00000000ECC4: 7E8202FA FF010439
	v_cndmask_b32_e64 v252, v57, v64, s[44:45]                 // 00000000ECCC: D10000FC 00B28139
	v_cndmask_b32_e64 v253, v65, v57, s[44:45]                 // 00000000ECD4: D10000FD 00B27341
	v_mov_b32_dpp v64, v252 row_shr:8 row_mask:0xf bank_mask:0xf// 00000000ECDC: 7E8002FA FF0118FC
	v_mov_b32_dpp v65, v252 row_shl:8 row_mask:0xf bank_mask:0xf// 00000000ECE4: 7E8202FA FF0108FC
	v_mov_b32_dpp v66, v253 row_shr:8 row_mask:0xf bank_mask:0xf// 00000000ECEC: 7E8402FA FF0118FD
	v_mov_b32_dpp v67, v253 row_shl:8 row_mask:0xf bank_mask:0xf// 00000000ECF4: 7E8602FA FF0108FD
	v_mov_b32_e32 v68, v252                                    // 00000000ECFC: 7E8803FC
	v_mov_b32_e32 v69, v253                                    // 00000000ED00: 7E8A03FD
	v_cndmask_b32_e64 v252, v68, v64, s[42:43]                 // 00000000ED04: D10000FC 00AA8144
	v_cndmask_b32_e64 v254, v68, v65, s[78:79]                 // 00000000ED0C: D10000FE 013A8344
	v_cndmask_b32_e64 v253, v69, v66, s[42:43]                 // 00000000ED14: D10000FD 00AA8545
	v_cndmask_b32_e64 v255, v69, v67, s[78:79]                 // 00000000ED1C: D10000FF 013A8745
	buffer_load_dword v58, v56, s[36:39], 0 offen              // 00000000ED24: E0501000 80093A38
	v_mul_f32_e32 v112, v18, v112                              // 00000000ED2C: 0AE0E112
	v_mul_f32_e32 v113, v18, v113                              // 00000000ED30: 0AE2E312
	v_mul_f32_e32 v114, v18, v114                              // 00000000ED34: 0AE4E512
	v_mul_f32_e32 v115, v18, v115                              // 00000000ED38: 0AE6E712
	v_mul_f32_e32 v116, v18, v116                              // 00000000ED3C: 0AE8E912
	v_mul_f32_e32 v117, v18, v117                              // 00000000ED40: 0AEAEB12
	v_mul_f32_e32 v118, v18, v118                              // 00000000ED44: 0AECED12
	v_mul_f32_e32 v119, v18, v119                              // 00000000ED48: 0AEEEF12
	v_mul_f32_e32 v120, v18, v120                              // 00000000ED4C: 0AF0F112
	v_mul_f32_e32 v121, v18, v121                              // 00000000ED50: 0AF2F312
	v_mul_f32_e32 v122, v18, v122                              // 00000000ED54: 0AF4F512
	v_mul_f32_e32 v123, v18, v123                              // 00000000ED58: 0AF6F712
	v_mul_f32_e32 v124, v18, v124                              // 00000000ED5C: 0AF8F912
	v_mul_f32_e32 v125, v18, v125                              // 00000000ED60: 0AFAFB12
	v_mul_f32_e32 v126, v18, v126                              // 00000000ED64: 0AFCFD12
	v_mul_f32_e32 v127, v18, v127                              // 00000000ED68: 0AFEFF12
	buffer_load_dwordx4 a[48:51], v28, s[16:19], 0 offen       // 00000000ED6C: E05C1000 8084301C
	v_mul_f32_dpp v112, v248, v112 quad_perm:[0,0,0,0] row_mask:0xf bank_mask:0xf// 00000000ED74: 0AE0E0FA FF0000F8
	v_mul_f32_dpp v113, v248, v113 quad_perm:[1,1,1,1] row_mask:0xf bank_mask:0xf// 00000000ED7C: 0AE2E2FA FF0055F8
	v_mul_f32_dpp v114, v248, v114 quad_perm:[2,2,2,2] row_mask:0xf bank_mask:0xf// 00000000ED84: 0AE4E4FA FF00AAF8
	v_mul_f32_dpp v115, v248, v115 quad_perm:[3,3,3,3] row_mask:0xf bank_mask:0xf// 00000000ED8C: 0AE6E6FA FF00FFF8
	v_mul_f32_dpp v116, v249, v116 quad_perm:[0,0,0,0] row_mask:0xf bank_mask:0xf// 00000000ED94: 0AE8E8FA FF0000F9
	v_mul_f32_dpp v117, v249, v117 quad_perm:[1,1,1,1] row_mask:0xf bank_mask:0xf// 00000000ED9C: 0AEAEAFA FF0055F9
	v_mul_f32_dpp v118, v249, v118 quad_perm:[2,2,2,2] row_mask:0xf bank_mask:0xf// 00000000EDA4: 0AECECFA FF00AAF9
	v_mul_f32_dpp v119, v249, v119 quad_perm:[3,3,3,3] row_mask:0xf bank_mask:0xf// 00000000EDAC: 0AEEEEFA FF00FFF9
	v_mul_f32_dpp v120, v250, v120 quad_perm:[0,0,0,0] row_mask:0xf bank_mask:0xf// 00000000EDB4: 0AF0F0FA FF0000FA
	v_mul_f32_dpp v121, v250, v121 quad_perm:[1,1,1,1] row_mask:0xf bank_mask:0xf// 00000000EDBC: 0AF2F2FA FF0055FA
	v_mul_f32_dpp v122, v250, v122 quad_perm:[2,2,2,2] row_mask:0xf bank_mask:0xf// 00000000EDC4: 0AF4F4FA FF00AAFA
	v_mul_f32_dpp v123, v250, v123 quad_perm:[3,3,3,3] row_mask:0xf bank_mask:0xf// 00000000EDCC: 0AF6F6FA FF00FFFA
	v_mul_f32_dpp v124, v251, v124 quad_perm:[0,0,0,0] row_mask:0xf bank_mask:0xf// 00000000EDD4: 0AF8F8FA FF0000FB
	v_mul_f32_dpp v125, v251, v125 quad_perm:[1,1,1,1] row_mask:0xf bank_mask:0xf// 00000000EDDC: 0AFAFAFA FF0055FB
	v_mul_f32_dpp v126, v251, v126 quad_perm:[2,2,2,2] row_mask:0xf bank_mask:0xf// 00000000EDE4: 0AFCFCFA FF00AAFB
	v_mul_f32_dpp v127, v251, v127 quad_perm:[3,3,3,3] row_mask:0xf bank_mask:0xf// 00000000EDEC: 0AFEFEFA FF00FFFB
	buffer_load_dwordx4 a[52:55], v28, s[16:19], 0 offen offset:1024// 00000000EDF4: E05C1400 8084341C
	v_mov_b32_e32 v48, v112                                    // 00000000EDFC: 7E600370
	v_max3_f32 v48, v112, v113, v48                            // 00000000EE00: D1D30030 04C2E370
	v_max3_f32 v48, v114, v115, v48                            // 00000000EE08: D1D30030 04C2E772
	v_max3_f32 v48, v116, v117, v48                            // 00000000EE10: D1D30030 04C2EB74
	v_max3_f32 v48, v118, v119, v48                            // 00000000EE18: D1D30030 04C2EF76
	v_max3_f32 v48, v120, v121, v48                            // 00000000EE20: D1D30030 04C2F378
	v_max3_f32 v48, v122, v123, v48                            // 00000000EE28: D1D30030 04C2F77A
	v_max3_f32 v48, v124, v125, v48                            // 00000000EE30: D1D30030 04C2FB7C
	v_max3_f32 v48, v126, v127, v48                            // 00000000EE38: D1D30030 04C2FF7E
	ds_write_b32 v8, v48 offset:16896                          // 00000000EE40: D81A4200 00003008
	buffer_load_dwordx4 a[56:59], v29, s[16:19], 0 offen       // 00000000EE48: E05C1000 8084381D
	v_mul_u32_u24_dpp v64, v17, v54 row_newbcast:1 row_mask:0xf bank_mask:0xf// 00000000EE50: 10806CFA FF015111
	v_mul_u32_u24_dpp v65, v17, v54 row_newbcast:5 row_mask:0xf bank_mask:0xf// 00000000EE58: 10826CFA FF015511
	v_mul_u32_u24_dpp v66, v17, v54 row_newbcast:9 row_mask:0xf bank_mask:0xf// 00000000EE60: 10846CFA FF015911
	v_mul_u32_u24_dpp v67, v17, v54 row_newbcast:13 row_mask:0xf bank_mask:0xf// 00000000EE68: 10866CFA FF015D11
	v_add_u32_e32 v34, v64, v6                                 // 00000000EE70: 68440D40
	v_add_u32_e32 v35, v65, v6                                 // 00000000EE74: 68460D41
	v_add_u32_e32 v36, v66, v6                                 // 00000000EE78: 68480D42
	v_add_u32_e32 v37, v67, v6                                 // 00000000EE7C: 684A0D43
	v_mul_f32_e32 v208, v49, v208                              // 00000000EE80: 0BA1A131
	v_mul_f32_e32 v209, v49, v209                              // 00000000EE84: 0BA3A331
	v_mul_f32_e32 v210, v49, v210                              // 00000000EE88: 0BA5A531
	v_mul_f32_e32 v211, v49, v211                              // 00000000EE8C: 0BA7A731
	v_mul_f32_e32 v212, v49, v212                              // 00000000EE90: 0BA9A931
	v_mul_f32_e32 v213, v49, v213                              // 00000000EE94: 0BABAB31
	v_mul_f32_e32 v214, v49, v214                              // 00000000EE98: 0BADAD31
	v_mul_f32_e32 v215, v49, v215                              // 00000000EE9C: 0BAFAF31
	s_waitcnt lgkmcnt(0)                                       // 00000000EEA0: BF8CC07F
	s_barrier                                                  // 00000000EEA4: BF8A0000
	ds_read_b32 v64, v7 offset:16896                           // 00000000EEA8: D86C4200 40000007
	ds_read_b32 v65, v7 offset:16960                           // 00000000EEB0: D86C4240 41000007
	ds_read_b32 v66, v7 offset:17024                           // 00000000EEB8: D86C4280 42000007
	ds_read_b32 v67, v7 offset:17088                           // 00000000EEC0: D86C42C0 43000007
	ds_read_b32 v68, v7 offset:17152                           // 00000000EEC8: D86C4300 44000007
	ds_read_b32 v69, v7 offset:17216                           // 00000000EED0: D86C4340 45000007
	ds_read_b32 v70, v7 offset:17280                           // 00000000EED8: D86C4380 46000007
	ds_read_b32 v71, v7 offset:17344                           // 00000000EEE0: D86C43C0 47000007
	ds_read_b32 v72, v7 offset:17408                           // 00000000EEE8: D86C4400 48000007
	ds_read_b32 v73, v7 offset:17472                           // 00000000EEF0: D86C4440 49000007
	ds_read_b32 v74, v7 offset:17536                           // 00000000EEF8: D86C4480 4A000007
	ds_read_b32 v75, v7 offset:17600                           // 00000000EF00: D86C44C0 4B000007
	ds_read_b32 v76, v7 offset:17664                           // 00000000EF08: D86C4500 4C000007
	ds_read_b32 v77, v7 offset:17728                           // 00000000EF10: D86C4540 4D000007
	ds_read_b32 v78, v7 offset:17792                           // 00000000EF18: D86C4580 4E000007
	ds_read_b32 v79, v7 offset:17856                           // 00000000EF20: D86C45C0 4F000007
	buffer_load_dwordx4 a[60:63], v29, s[16:19], 0 offen offset:1024// 00000000EF28: E05C1400 80843C1D
	v_mul_f32_e32 v176, v44, v176                              // 00000000EF30: 0B61612C
	v_mul_f32_e32 v177, v44, v177                              // 00000000EF34: 0B63632C
	v_mul_f32_e32 v178, v44, v178                              // 00000000EF38: 0B65652C
	v_mul_f32_e32 v179, v44, v179                              // 00000000EF3C: 0B67672C
	v_mul_f32_e32 v180, v44, v180                              // 00000000EF40: 0B69692C
	v_mul_f32_e32 v181, v44, v181                              // 00000000EF44: 0B6B6B2C
	v_mul_f32_e32 v182, v44, v182                              // 00000000EF48: 0B6D6D2C
	v_mul_f32_e32 v183, v44, v183                              // 00000000EF4C: 0B6F6F2C
	s_waitcnt lgkmcnt(0)                                       // 00000000EF50: BF8CC07F
	v_max3_f32 v48, v64, v65, v48                              // 00000000EF54: D1D30030 04C28340
	v_max3_f32 v48, v66, v67, v48                              // 00000000EF5C: D1D30030 04C28742
	v_max3_f32 v48, v68, v69, v48                              // 00000000EF64: D1D30030 04C28B44
	v_max3_f32 v48, v70, v71, v48                              // 00000000EF6C: D1D30030 04C28F46
	v_max3_f32 v48, v72, v73, v48                              // 00000000EF74: D1D30030 04C29348
	v_max3_f32 v48, v74, v75, v48                              // 00000000EF7C: D1D30030 04C2974A
	v_max3_f32 v48, v76, v77, v48                              // 00000000EF84: D1D30030 04C29B4C
	v_max3_f32 v48, v78, v79, v48                              // 00000000EF8C: D1D30030 04C29F4E
	buffer_load_dwordx4 a[96:99], v34, s[20:23], 0 offen       // 00000000EF94: E05C1000 80856022
	v_mov_b32_e32 v64, 0xff800000                              // 00000000EF9C: 7E8002FF FF800000
	v_cmp_eq_u32_e64 s[40:41], v64, v11                        // 00000000EFA4: D0CA0028 00021740
	s_nop 1                                                    // 00000000EFAC: BF800001
	v_max_f32_e32 v15, v48, v11                                // 00000000EFB0: 161E1730
	v_mul_f32_e32 v53, s64, v15                                // 00000000EFB4: 0A6A1E40
	v_fma_f32 v112, v112, s64, -v53                            // 00000000EFB8: D1CB0070 84D48170
	v_fma_f32 v113, v113, s64, -v53                            // 00000000EFC0: D1CB0071 84D48171
	v_fma_f32 v114, v114, s64, -v53                            // 00000000EFC8: D1CB0072 84D48172
	v_fma_f32 v115, v115, s64, -v53                            // 00000000EFD0: D1CB0073 84D48173
	v_fma_f32 v116, v116, s64, -v53                            // 00000000EFD8: D1CB0074 84D48174
	v_fma_f32 v117, v117, s64, -v53                            // 00000000EFE0: D1CB0075 84D48175
	v_fma_f32 v118, v118, s64, -v53                            // 00000000EFE8: D1CB0076 84D48176
	v_fma_f32 v119, v119, s64, -v53                            // 00000000EFF0: D1CB0077 84D48177
	v_fma_f32 v120, v120, s64, -v53                            // 00000000EFF8: D1CB0078 84D48178
	v_fma_f32 v121, v121, s64, -v53                            // 00000000F000: D1CB0079 84D48179
	v_fma_f32 v122, v122, s64, -v53                            // 00000000F008: D1CB007A 84D4817A
	v_fma_f32 v123, v123, s64, -v53                            // 00000000F010: D1CB007B 84D4817B
	v_fma_f32 v124, v124, s64, -v53                            // 00000000F018: D1CB007C 84D4817C
	v_fma_f32 v125, v125, s64, -v53                            // 00000000F020: D1CB007D 84D4817D
	v_fma_f32 v126, v126, s64, -v53                            // 00000000F028: D1CB007E 84D4817E
	v_fma_f32 v127, v127, s64, -v53                            // 00000000F030: D1CB007F 84D4817F
	buffer_load_dwordx4 a[100:103], v35, s[20:23], 0 offen     // 00000000F038: E05C1000 80856423
	v_exp_f32_e32 v112, v112                                   // 00000000F040: 7EE04170
	v_exp_f32_e32 v113, v113                                   // 00000000F044: 7EE24171
	v_exp_f32_e32 v114, v114                                   // 00000000F048: 7EE44172
	v_exp_f32_e32 v115, v115                                   // 00000000F04C: 7EE64173
	v_exp_f32_e32 v116, v116                                   // 00000000F050: 7EE84174
	v_exp_f32_e32 v117, v117                                   // 00000000F054: 7EEA4175
	v_exp_f32_e32 v118, v118                                   // 00000000F058: 7EEC4176
	v_exp_f32_e32 v119, v119                                   // 00000000F05C: 7EEE4177
	v_exp_f32_e32 v120, v120                                   // 00000000F060: 7EF04178
	v_exp_f32_e32 v121, v121                                   // 00000000F064: 7EF24179
	v_exp_f32_e32 v122, v122                                   // 00000000F068: 7EF4417A
	v_exp_f32_e32 v123, v123                                   // 00000000F06C: 7EF6417B
	v_exp_f32_e32 v124, v124                                   // 00000000F070: 7EF8417C
	v_exp_f32_e32 v125, v125                                   // 00000000F074: 7EFA417D
	v_exp_f32_e32 v126, v126                                   // 00000000F078: 7EFC417E
	v_exp_f32_e32 v127, v127                                   // 00000000F07C: 7EFE417F
	buffer_load_dwordx4 a[104:107], v36, s[20:23], 0 offen     // 00000000F080: E05C1000 80856824
	v_mul_f32_dpp v240, v252, v112 quad_perm:[0,0,0,0] row_mask:0xf bank_mask:0xf// 00000000F088: 0BE0E0FA FF0000FC
	v_mul_f32_dpp v241, v252, v113 quad_perm:[1,1,1,1] row_mask:0xf bank_mask:0xf// 00000000F090: 0BE2E2FA FF0055FC
	v_mul_f32_dpp v242, v252, v114 quad_perm:[2,2,2,2] row_mask:0xf bank_mask:0xf// 00000000F098: 0BE4E4FA FF00AAFC
	v_mul_f32_dpp v243, v252, v115 quad_perm:[3,3,3,3] row_mask:0xf bank_mask:0xf// 00000000F0A0: 0BE6E6FA FF00FFFC
	v_mul_f32_dpp v244, v253, v116 quad_perm:[0,0,0,0] row_mask:0xf bank_mask:0xf// 00000000F0A8: 0BE8E8FA FF0000FD
	v_mul_f32_dpp v245, v253, v117 quad_perm:[1,1,1,1] row_mask:0xf bank_mask:0xf// 00000000F0B0: 0BEAEAFA FF0055FD
	v_mul_f32_dpp v246, v253, v118 quad_perm:[2,2,2,2] row_mask:0xf bank_mask:0xf// 00000000F0B8: 0BECECFA FF00AAFD
	v_mul_f32_dpp v247, v253, v119 quad_perm:[3,3,3,3] row_mask:0xf bank_mask:0xf// 00000000F0C0: 0BEEEEFA FF00FFFD
	v_mul_f32_dpp v248, v254, v120 quad_perm:[0,0,0,0] row_mask:0xf bank_mask:0xf// 00000000F0C8: 0BF0F0FA FF0000FE
	v_mul_f32_dpp v249, v254, v121 quad_perm:[1,1,1,1] row_mask:0xf bank_mask:0xf// 00000000F0D0: 0BF2F2FA FF0055FE
	v_mul_f32_dpp v250, v254, v122 quad_perm:[2,2,2,2] row_mask:0xf bank_mask:0xf// 00000000F0D8: 0BF4F4FA FF00AAFE
	v_mul_f32_dpp v251, v254, v123 quad_perm:[3,3,3,3] row_mask:0xf bank_mask:0xf// 00000000F0E0: 0BF6F6FA FF00FFFE
	v_mul_f32_dpp v252, v255, v124 quad_perm:[0,0,0,0] row_mask:0xf bank_mask:0xf// 00000000F0E8: 0BF8F8FA FF0000FF
	v_mul_f32_dpp v253, v255, v125 quad_perm:[1,1,1,1] row_mask:0xf bank_mask:0xf// 00000000F0F0: 0BFAFAFA FF0055FF
	v_mul_f32_dpp v254, v255, v126 quad_perm:[2,2,2,2] row_mask:0xf bank_mask:0xf// 00000000F0F8: 0BFCFCFA FF00AAFF
	v_mul_f32_dpp v255, v255, v127 quad_perm:[3,3,3,3] row_mask:0xf bank_mask:0xf// 00000000F100: 0BFEFEFA FF00FFFF
	v_mov_b32_e32 v48, 0x358637bd                              // 00000000F108: 7E6002FF 358637BD
	v_max3_f32 v48, |v240|, |v241|, v48                        // 00000000F110: D1D30330 04C3E3F0
	v_max3_f32 v48, |v242|, |v243|, v48                        // 00000000F118: D1D30330 04C3E7F2
	v_max3_f32 v48, |v244|, |v245|, v48                        // 00000000F120: D1D30330 04C3EBF4
	v_max3_f32 v48, |v246|, |v247|, v48                        // 00000000F128: D1D30330 04C3EFF6
	v_max3_f32 v48, |v248|, |v249|, v48                        // 00000000F130: D1D30330 04C3F3F8
	v_max3_f32 v48, |v250|, |v251|, v48                        // 00000000F138: D1D30330 04C3F7FA
	v_max3_f32 v48, |v252|, |v253|, v48                        // 00000000F140: D1D30330 04C3FBFC
	v_max3_f32 v48, |v254|, |v255|, v48                        // 00000000F148: D1D30330 04C3FFFE
	buffer_load_dwordx4 a[108:111], v37, s[20:23], 0 offen     // 00000000F150: E05C1000 80856C25
	ds_write_b32 v8, v48 offset:20992                          // 00000000F158: D81A5200 00003008
	v_sub_f32_e32 v49, v11, v15                                // 00000000F160: 04621F0B
	v_cndmask_b32_e64 v49, v49, 0, s[40:41]                    // 00000000F164: D1000031 00A10131
	v_mov_b32_e32 v11, v15                                     // 00000000F16C: 7E16030F
	v_mul_f32_e32 v49, s64, v49                                // 00000000F170: 0A626240
	v_exp_f32_e32 v49, v49                                     // 00000000F174: 7E624131
	s_waitcnt lgkmcnt(0)                                       // 00000000F178: BF8CC07F
	s_barrier                                                  // 00000000F17C: BF8A0000
	ds_read_b32 v64, v7 offset:20992                           // 00000000F180: D86C5200 40000007
	ds_read_b32 v65, v7 offset:21056                           // 00000000F188: D86C5240 41000007
	ds_read_b32 v66, v7 offset:21120                           // 00000000F190: D86C5280 42000007
	ds_read_b32 v67, v7 offset:21184                           // 00000000F198: D86C52C0 43000007
	ds_read_b32 v68, v7 offset:21248                           // 00000000F1A0: D86C5300 44000007
	ds_read_b32 v69, v7 offset:21312                           // 00000000F1A8: D86C5340 45000007
	ds_read_b32 v70, v7 offset:21376                           // 00000000F1B0: D86C5380 46000007
	ds_read_b32 v71, v7 offset:21440                           // 00000000F1B8: D86C53C0 47000007
	ds_read_b32 v72, v7 offset:21504                           // 00000000F1C0: D86C5400 48000007
	ds_read_b32 v73, v7 offset:21568                           // 00000000F1C8: D86C5440 49000007
	ds_read_b32 v74, v7 offset:21632                           // 00000000F1D0: D86C5480 4A000007
	ds_read_b32 v75, v7 offset:21696                           // 00000000F1D8: D86C54C0 4B000007
	ds_read_b32 v76, v7 offset:21760                           // 00000000F1E0: D86C5500 4C000007
	ds_read_b32 v77, v7 offset:21824                           // 00000000F1E8: D86C5540 4D000007
	ds_read_b32 v78, v7 offset:21888                           // 00000000F1F0: D86C5580 4E000007
	ds_read_b32 v79, v7 offset:21952                           // 00000000F1F8: D86C55C0 4F000007
	v_mul_f32_e32 v38, v49, v38                                // 00000000F200: 0A4C4D31
	v_mov_b32_e32 v15, v112                                    // 00000000F204: 7E1E0370
	v_add_f32_e32 v15, v113, v15                               // 00000000F208: 021E1F71
	v_add_f32_e32 v15, v114, v15                               // 00000000F20C: 021E1F72
	v_add_f32_e32 v15, v115, v15                               // 00000000F210: 021E1F73
	v_add_f32_e32 v15, v116, v15                               // 00000000F214: 021E1F74
	v_add_f32_e32 v15, v117, v15                               // 00000000F218: 021E1F75
	v_add_f32_e32 v15, v118, v15                               // 00000000F21C: 021E1F76
	v_add_f32_e32 v15, v119, v15                               // 00000000F220: 021E1F77
	v_add_f32_e32 v15, v120, v15                               // 00000000F224: 021E1F78
	v_add_f32_e32 v15, v121, v15                               // 00000000F228: 021E1F79
	v_add_f32_e32 v15, v122, v15                               // 00000000F22C: 021E1F7A
	v_add_f32_e32 v15, v123, v15                               // 00000000F230: 021E1F7B
	v_add_f32_e32 v15, v124, v15                               // 00000000F234: 021E1F7C
	v_add_f32_e32 v15, v125, v15                               // 00000000F238: 021E1F7D
	v_add_f32_e32 v15, v126, v15                               // 00000000F23C: 021E1F7E
	v_add_f32_e32 v15, v127, v15                               // 00000000F240: 021E1F7F
	v_add_f32_e32 v38, v15, v38                                // 00000000F244: 024C4D0F
	s_waitcnt lgkmcnt(0)                                       // 00000000F248: BF8CC07F
	v_max3_f32 v48, |v64|, |v65|, v48                          // 00000000F24C: D1D30330 04C28340
	v_max3_f32 v48, |v66|, |v67|, v48                          // 00000000F254: D1D30330 04C28742
	v_max3_f32 v48, |v68|, |v69|, v48                          // 00000000F25C: D1D30330 04C28B44
	v_max3_f32 v48, |v70|, |v71|, v48                          // 00000000F264: D1D30330 04C28F46
	v_max3_f32 v48, |v72|, |v73|, v48                          // 00000000F26C: D1D30330 04C29348
	v_max3_f32 v48, |v74|, |v75|, v48                          // 00000000F274: D1D30330 04C2974A
	v_max3_f32 v48, |v76|, |v77|, v48                          // 00000000F27C: D1D30330 04C29B4C
	v_max3_f32 v48, |v78|, |v79|, v48                          // 00000000F284: D1D30330 04C29F4E
	s_nop 2                                                    // 00000000F28C: BF800002
	v_rcp_f32_e32 v48, v48                                     // 00000000F290: 7E604530
	s_nop 1                                                    // 00000000F294: BF800001
	v_mul_f32_e32 v48, 0x43e00000, v48                         // 00000000F298: 0A6060FF 43E00000
	v_mul_f32_e32 v112, v48, v240                              // 00000000F2A0: 0AE1E130
	v_mul_f32_e32 v113, v48, v241                              // 00000000F2A4: 0AE3E330
	v_mul_f32_e32 v114, v48, v242                              // 00000000F2A8: 0AE5E530
	v_mul_f32_e32 v115, v48, v243                              // 00000000F2AC: 0AE7E730
	v_mul_f32_e32 v116, v48, v244                              // 00000000F2B0: 0AE9E930
	v_mul_f32_e32 v117, v48, v245                              // 00000000F2B4: 0AEBEB30
	v_mul_f32_e32 v118, v48, v246                              // 00000000F2B8: 0AEDED30
	v_mul_f32_e32 v119, v48, v247                              // 00000000F2BC: 0AEFEF30
	v_mul_f32_e32 v120, v48, v248                              // 00000000F2C0: 0AF1F130
	v_mul_f32_e32 v121, v48, v249                              // 00000000F2C4: 0AF3F330
	v_mul_f32_e32 v122, v48, v250                              // 00000000F2C8: 0AF5F530
	v_mul_f32_e32 v123, v48, v251                              // 00000000F2CC: 0AF7F730
	v_mul_f32_e32 v124, v48, v252                              // 00000000F2D0: 0AF9F930
	v_mul_f32_e32 v125, v48, v253                              // 00000000F2D4: 0AFBFB30
	v_mul_f32_e32 v126, v48, v254                              // 00000000F2D8: 0AFDFD30
	v_mul_f32_e32 v127, v48, v255                              // 00000000F2DC: 0AFFFF30
	v_cvt_pk_fp8_f32 v112, v112, v113                          // 00000000F2E0: D2A20070 0002E370
	v_cvt_pk_fp8_f32 v112, v114, v115 op_sel:[0,0,1]           // 00000000F2E8: D2A24070 0002E772
	v_cvt_pk_fp8_f32 v113, v116, v117                          // 00000000F2F0: D2A20071 0002EB74
	v_cvt_pk_fp8_f32 v113, v118, v119 op_sel:[0,0,1]           // 00000000F2F8: D2A24071 0002EF76
	v_cvt_pk_fp8_f32 v114, v120, v121                          // 00000000F300: D2A20072 0002F378
	v_cvt_pk_fp8_f32 v114, v122, v123 op_sel:[0,0,1]           // 00000000F308: D2A24072 0002F77A
	v_cvt_pk_fp8_f32 v115, v124, v125                          // 00000000F310: D2A20073 0002FB7C
	v_cvt_pk_fp8_f32 v115, v126, v127 op_sel:[0,0,1]           // 00000000F318: D2A24073 0002FF7E
	ds_write_b32 v10, v112 offset:25088                        // 00000000F320: D81A6200 0000700A
	ds_write_b32 v10, v113 offset:26112                        // 00000000F328: D81A6600 0000710A
	ds_write_b32 v10, v114 offset:27136                        // 00000000F330: D81A6A00 0000720A
	ds_write_b32 v10, v115 offset:28160                        // 00000000F338: D81A6E00 0000730A
	v_add_f32_e32 v208, v208, v176                             // 00000000F340: 03A161D0
	v_add_f32_e32 v209, v209, v177                             // 00000000F344: 03A363D1
	v_add_f32_e32 v210, v210, v178                             // 00000000F348: 03A565D2
	v_add_f32_e32 v211, v211, v179                             // 00000000F34C: 03A767D3
	v_add_f32_e32 v212, v212, v180                             // 00000000F350: 03A969D4
	v_add_f32_e32 v213, v213, v181                             // 00000000F354: 03AB6BD5
	v_add_f32_e32 v214, v214, v182                             // 00000000F358: 03AD6DD6
	v_add_f32_e32 v215, v215, v183                             // 00000000F35C: 03AF6FD7
	v_rcp_f32_e32 v44, v48                                     // 00000000F360: 7E584530
	s_waitcnt lgkmcnt(0)                                       // 00000000F364: BF8CC07F
	s_barrier                                                  // 00000000F368: BF8A0000
	ds_read_b64 v[112:113], v9 offset:25088                    // 00000000F36C: D8EC6200 70000009
	ds_read_b64 v[114:115], v9 offset:25216                    // 00000000F374: D8EC6280 72000009
	ds_read_b64 v[116:117], v9 offset:26112                    // 00000000F37C: D8EC6600 74000009
	ds_read_b64 v[118:119], v9 offset:26240                    // 00000000F384: D8EC6680 76000009
	ds_read_b64 v[120:121], v9 offset:27136                    // 00000000F38C: D8EC6A00 78000009
	ds_read_b64 v[122:123], v9 offset:27264                    // 00000000F394: D8EC6A80 7A000009
	ds_read_b64 v[124:125], v9 offset:28160                    // 00000000F39C: D8EC6E00 7C000009
	ds_read_b64 v[126:127], v9 offset:28288                    // 00000000F3A4: D8EC6E80 7E000009
	v_mov_b32_dpp v64, v42 row_shr:4 row_mask:0xf bank_mask:0xf// 00000000F3AC: 7E8002FA FF01142A
	v_mov_b32_dpp v65, v42 row_shl:4 row_mask:0xf bank_mask:0xf// 00000000F3B4: 7E8202FA FF01042A
	v_cndmask_b32_e64 v248, v42, v64, s[44:45]                 // 00000000F3BC: D10000F8 00B2812A
	v_cndmask_b32_e64 v249, v65, v42, s[44:45]                 // 00000000F3C4: D10000F9 00B25541
	v_mov_b32_dpp v64, v248 row_shr:8 row_mask:0xf bank_mask:0xf// 00000000F3CC: 7E8002FA FF0118F8
	v_mov_b32_dpp v65, v248 row_shl:8 row_mask:0xf bank_mask:0xf// 00000000F3D4: 7E8202FA FF0108F8
	v_mov_b32_dpp v66, v249 row_shr:8 row_mask:0xf bank_mask:0xf// 00000000F3DC: 7E8402FA FF0118F9
	v_mov_b32_dpp v67, v249 row_shl:8 row_mask:0xf bank_mask:0xf// 00000000F3E4: 7E8602FA FF0108F9
	v_mov_b32_e32 v68, v248                                    // 00000000F3EC: 7E8803F8
	v_mov_b32_e32 v69, v249                                    // 00000000F3F0: 7E8A03F9
	v_cndmask_b32_e64 v248, v68, v64, s[42:43]                 // 00000000F3F4: D10000F8 00AA8144
	v_cndmask_b32_e64 v250, v68, v65, s[78:79]                 // 00000000F3FC: D10000FA 013A8344
	v_cndmask_b32_e64 v249, v69, v66, s[42:43]                 // 00000000F404: D10000F9 00AA8545
	v_cndmask_b32_e64 v251, v69, v67, s[78:79]                 // 00000000F40C: D10000FB 013A8745
	v_mov_b32_dpp v64, v57 row_shr:4 row_mask:0xf bank_mask:0xf// 00000000F414: 7E8002FA FF011439
	v_mov_b32_dpp v65, v57 row_shl:4 row_mask:0xf bank_mask:0xf// 00000000F41C: 7E8202FA FF010439
	v_cndmask_b32_e64 v252, v57, v64, s[44:45]                 // 00000000F424: D10000FC 00B28139
	v_cndmask_b32_e64 v253, v65, v57, s[44:45]                 // 00000000F42C: D10000FD 00B27341
	v_mov_b32_dpp v64, v252 row_shr:8 row_mask:0xf bank_mask:0xf// 00000000F434: 7E8002FA FF0118FC
	v_mov_b32_dpp v65, v252 row_shl:8 row_mask:0xf bank_mask:0xf// 00000000F43C: 7E8202FA FF0108FC
	v_mov_b32_dpp v66, v253 row_shr:8 row_mask:0xf bank_mask:0xf// 00000000F444: 7E8402FA FF0118FD
	v_mov_b32_dpp v67, v253 row_shl:8 row_mask:0xf bank_mask:0xf// 00000000F44C: 7E8602FA FF0108FD
	v_mov_b32_e32 v68, v252                                    // 00000000F454: 7E8803FC
	v_mov_b32_e32 v69, v253                                    // 00000000F458: 7E8A03FD
	v_cndmask_b32_e64 v252, v68, v64, s[42:43]                 // 00000000F45C: D10000FC 00AA8144
	v_cndmask_b32_e64 v254, v68, v65, s[78:79]                 // 00000000F464: D10000FE 013A8344
	v_cndmask_b32_e64 v253, v69, v66, s[42:43]                 // 00000000F46C: D10000FD 00AA8545
	v_cndmask_b32_e64 v255, v69, v67, s[78:79]                 // 00000000F474: D10000FF 013A8745
	v_mul_f32_e32 v128, v19, v128                              // 00000000F47C: 0B010113
	v_mul_f32_e32 v129, v19, v129                              // 00000000F480: 0B030313
	v_mul_f32_e32 v130, v19, v130                              // 00000000F484: 0B050513
	v_mul_f32_e32 v131, v19, v131                              // 00000000F488: 0B070713
	v_mul_f32_e32 v132, v19, v132                              // 00000000F48C: 0B090913
	v_mul_f32_e32 v133, v19, v133                              // 00000000F490: 0B0B0B13
	v_mul_f32_e32 v134, v19, v134                              // 00000000F494: 0B0D0D13
	v_mul_f32_e32 v135, v19, v135                              // 00000000F498: 0B0F0F13
	v_mul_f32_e32 v136, v19, v136                              // 00000000F49C: 0B111113
	v_mul_f32_e32 v137, v19, v137                              // 00000000F4A0: 0B131313
	v_mul_f32_e32 v138, v19, v138                              // 00000000F4A4: 0B151513
	v_mul_f32_e32 v139, v19, v139                              // 00000000F4A8: 0B171713
	v_mul_f32_e32 v140, v19, v140                              // 00000000F4AC: 0B191913
	v_mul_f32_e32 v141, v19, v141                              // 00000000F4B0: 0B1B1B13
	v_mul_f32_e32 v142, v19, v142                              // 00000000F4B4: 0B1D1D13
	v_mul_f32_e32 v143, v19, v143                              // 00000000F4B8: 0B1F1F13
	v_mul_f32_dpp v128, v248, v128 quad_perm:[0,0,0,0] row_mask:0xf bank_mask:0xf// 00000000F4BC: 0B0100FA FF0000F8
	v_mul_f32_dpp v129, v248, v129 quad_perm:[1,1,1,1] row_mask:0xf bank_mask:0xf// 00000000F4C4: 0B0302FA FF0055F8
	v_mul_f32_dpp v130, v248, v130 quad_perm:[2,2,2,2] row_mask:0xf bank_mask:0xf// 00000000F4CC: 0B0504FA FF00AAF8
	v_mul_f32_dpp v131, v248, v131 quad_perm:[3,3,3,3] row_mask:0xf bank_mask:0xf// 00000000F4D4: 0B0706FA FF00FFF8
	v_mul_f32_dpp v132, v249, v132 quad_perm:[0,0,0,0] row_mask:0xf bank_mask:0xf// 00000000F4DC: 0B0908FA FF0000F9
	v_mul_f32_dpp v133, v249, v133 quad_perm:[1,1,1,1] row_mask:0xf bank_mask:0xf// 00000000F4E4: 0B0B0AFA FF0055F9
	v_mul_f32_dpp v134, v249, v134 quad_perm:[2,2,2,2] row_mask:0xf bank_mask:0xf// 00000000F4EC: 0B0D0CFA FF00AAF9
	v_mul_f32_dpp v135, v249, v135 quad_perm:[3,3,3,3] row_mask:0xf bank_mask:0xf// 00000000F4F4: 0B0F0EFA FF00FFF9
	v_mul_f32_dpp v136, v250, v136 quad_perm:[0,0,0,0] row_mask:0xf bank_mask:0xf// 00000000F4FC: 0B1110FA FF0000FA
	v_mul_f32_dpp v137, v250, v137 quad_perm:[1,1,1,1] row_mask:0xf bank_mask:0xf// 00000000F504: 0B1312FA FF0055FA
	v_mul_f32_dpp v138, v250, v138 quad_perm:[2,2,2,2] row_mask:0xf bank_mask:0xf// 00000000F50C: 0B1514FA FF00AAFA
	v_mul_f32_dpp v139, v250, v139 quad_perm:[3,3,3,3] row_mask:0xf bank_mask:0xf// 00000000F514: 0B1716FA FF00FFFA
	v_mul_f32_dpp v140, v251, v140 quad_perm:[0,0,0,0] row_mask:0xf bank_mask:0xf// 00000000F51C: 0B1918FA FF0000FB
	v_mul_f32_dpp v141, v251, v141 quad_perm:[1,1,1,1] row_mask:0xf bank_mask:0xf// 00000000F524: 0B1B1AFA FF0055FB
	v_mul_f32_dpp v142, v251, v142 quad_perm:[2,2,2,2] row_mask:0xf bank_mask:0xf// 00000000F52C: 0B1D1CFA FF00AAFB
	v_mul_f32_dpp v143, v251, v143 quad_perm:[3,3,3,3] row_mask:0xf bank_mask:0xf// 00000000F534: 0B1F1EFA FF00FFFB
	v_mov_b32_e32 v48, v128                                    // 00000000F53C: 7E600380
	v_max3_f32 v48, v128, v129, v48                            // 00000000F540: D1D30030 04C30380
	v_max3_f32 v48, v130, v131, v48                            // 00000000F548: D1D30030 04C30782
	v_max3_f32 v48, v132, v133, v48                            // 00000000F550: D1D30030 04C30B84
	v_max3_f32 v48, v134, v135, v48                            // 00000000F558: D1D30030 04C30F86
	v_max3_f32 v48, v136, v137, v48                            // 00000000F560: D1D30030 04C31388
	v_max3_f32 v48, v138, v139, v48                            // 00000000F568: D1D30030 04C3178A
	v_max3_f32 v48, v140, v141, v48                            // 00000000F570: D1D30030 04C31B8C
	v_max3_f32 v48, v142, v143, v48                            // 00000000F578: D1D30030 04C31F8E
	ds_write_b32 v8, v48 offset:16896                          // 00000000F580: D81A4200 00003008
	v_mul_f32_e32 v216, v50, v216                              // 00000000F588: 0BB1B132
	v_mul_f32_e32 v217, v50, v217                              // 00000000F58C: 0BB3B332
	v_mul_f32_e32 v218, v50, v218                              // 00000000F590: 0BB5B532
	v_mul_f32_e32 v219, v50, v219                              // 00000000F594: 0BB7B732
	v_mul_f32_e32 v220, v50, v220                              // 00000000F598: 0BB9B932
	v_mul_f32_e32 v221, v50, v221                              // 00000000F59C: 0BBBBB32
	v_mul_f32_e32 v222, v50, v222                              // 00000000F5A0: 0BBDBD32
	v_mul_f32_e32 v223, v50, v223                              // 00000000F5A4: 0BBFBF32
	s_waitcnt lgkmcnt(0)                                       // 00000000F5A8: BF8CC07F
	s_barrier                                                  // 00000000F5AC: BF8A0000
	ds_read_b32 v64, v7 offset:16896                           // 00000000F5B0: D86C4200 40000007
	ds_read_b32 v65, v7 offset:16960                           // 00000000F5B8: D86C4240 41000007
	ds_read_b32 v66, v7 offset:17024                           // 00000000F5C0: D86C4280 42000007
	ds_read_b32 v67, v7 offset:17088                           // 00000000F5C8: D86C42C0 43000007
	ds_read_b32 v68, v7 offset:17152                           // 00000000F5D0: D86C4300 44000007
	ds_read_b32 v69, v7 offset:17216                           // 00000000F5D8: D86C4340 45000007
	ds_read_b32 v70, v7 offset:17280                           // 00000000F5E0: D86C4380 46000007
	ds_read_b32 v71, v7 offset:17344                           // 00000000F5E8: D86C43C0 47000007
	ds_read_b32 v72, v7 offset:17408                           // 00000000F5F0: D86C4400 48000007
	ds_read_b32 v73, v7 offset:17472                           // 00000000F5F8: D86C4440 49000007
	ds_read_b32 v74, v7 offset:17536                           // 00000000F600: D86C4480 4A000007
	ds_read_b32 v75, v7 offset:17600                           // 00000000F608: D86C44C0 4B000007
	ds_read_b32 v76, v7 offset:17664                           // 00000000F610: D86C4500 4C000007
	ds_read_b32 v77, v7 offset:17728                           // 00000000F618: D86C4540 4D000007
	ds_read_b32 v78, v7 offset:17792                           // 00000000F620: D86C4580 4E000007
	ds_read_b32 v79, v7 offset:17856                           // 00000000F628: D86C45C0 4F000007
	v_mul_f32_e32 v184, v45, v184                              // 00000000F630: 0B71712D
	v_mul_f32_e32 v185, v45, v185                              // 00000000F634: 0B73732D
	v_mul_f32_e32 v186, v45, v186                              // 00000000F638: 0B75752D
	v_mul_f32_e32 v187, v45, v187                              // 00000000F63C: 0B77772D
	v_mul_f32_e32 v188, v45, v188                              // 00000000F640: 0B79792D
	v_mul_f32_e32 v189, v45, v189                              // 00000000F644: 0B7B7B2D
	v_mul_f32_e32 v190, v45, v190                              // 00000000F648: 0B7D7D2D
	v_mul_f32_e32 v191, v45, v191                              // 00000000F64C: 0B7F7F2D
	s_waitcnt lgkmcnt(0)                                       // 00000000F650: BF8CC07F
	v_max3_f32 v48, v64, v65, v48                              // 00000000F654: D1D30030 04C28340
	v_max3_f32 v48, v66, v67, v48                              // 00000000F65C: D1D30030 04C28742
	v_max3_f32 v48, v68, v69, v48                              // 00000000F664: D1D30030 04C28B44
	v_max3_f32 v48, v70, v71, v48                              // 00000000F66C: D1D30030 04C28F46
	v_max3_f32 v48, v72, v73, v48                              // 00000000F674: D1D30030 04C29348
	v_max3_f32 v48, v74, v75, v48                              // 00000000F67C: D1D30030 04C2974A
	v_max3_f32 v48, v76, v77, v48                              // 00000000F684: D1D30030 04C29B4C
	v_max3_f32 v48, v78, v79, v48                              // 00000000F68C: D1D30030 04C29F4E
	v_mov_b32_e32 v64, 0xff800000                              // 00000000F694: 7E8002FF FF800000
	v_cmp_eq_u32_e64 s[40:41], v64, v12                        // 00000000F69C: D0CA0028 00021940
	s_nop 1                                                    // 00000000F6A4: BF800001
	v_max_f32_e32 v15, v48, v12                                // 00000000F6A8: 161E1930
	v_mul_f32_e32 v53, s64, v15                                // 00000000F6AC: 0A6A1E40
	v_fma_f32 v128, v128, s64, -v53                            // 00000000F6B0: D1CB0080 84D48180
	v_fma_f32 v129, v129, s64, -v53                            // 00000000F6B8: D1CB0081 84D48181
	v_fma_f32 v130, v130, s64, -v53                            // 00000000F6C0: D1CB0082 84D48182
	v_fma_f32 v131, v131, s64, -v53                            // 00000000F6C8: D1CB0083 84D48183
	v_fma_f32 v132, v132, s64, -v53                            // 00000000F6D0: D1CB0084 84D48184
	v_fma_f32 v133, v133, s64, -v53                            // 00000000F6D8: D1CB0085 84D48185
	v_fma_f32 v134, v134, s64, -v53                            // 00000000F6E0: D1CB0086 84D48186
	v_fma_f32 v135, v135, s64, -v53                            // 00000000F6E8: D1CB0087 84D48187
	v_fma_f32 v136, v136, s64, -v53                            // 00000000F6F0: D1CB0088 84D48188
	v_fma_f32 v137, v137, s64, -v53                            // 00000000F6F8: D1CB0089 84D48189
	v_fma_f32 v138, v138, s64, -v53                            // 00000000F700: D1CB008A 84D4818A
	v_fma_f32 v139, v139, s64, -v53                            // 00000000F708: D1CB008B 84D4818B
	v_fma_f32 v140, v140, s64, -v53                            // 00000000F710: D1CB008C 84D4818C
	v_fma_f32 v141, v141, s64, -v53                            // 00000000F718: D1CB008D 84D4818D
	v_fma_f32 v142, v142, s64, -v53                            // 00000000F720: D1CB008E 84D4818E
	v_fma_f32 v143, v143, s64, -v53                            // 00000000F728: D1CB008F 84D4818F
	v_exp_f32_e32 v128, v128                                   // 00000000F730: 7F004180
	v_exp_f32_e32 v129, v129                                   // 00000000F734: 7F024181
	v_exp_f32_e32 v130, v130                                   // 00000000F738: 7F044182
	v_exp_f32_e32 v131, v131                                   // 00000000F73C: 7F064183
	v_exp_f32_e32 v132, v132                                   // 00000000F740: 7F084184
	v_exp_f32_e32 v133, v133                                   // 00000000F744: 7F0A4185
	v_exp_f32_e32 v134, v134                                   // 00000000F748: 7F0C4186
	v_exp_f32_e32 v135, v135                                   // 00000000F74C: 7F0E4187
	v_exp_f32_e32 v136, v136                                   // 00000000F750: 7F104188
	v_exp_f32_e32 v137, v137                                   // 00000000F754: 7F124189
	v_exp_f32_e32 v138, v138                                   // 00000000F758: 7F14418A
	v_exp_f32_e32 v139, v139                                   // 00000000F75C: 7F16418B
	v_exp_f32_e32 v140, v140                                   // 00000000F760: 7F18418C
	v_exp_f32_e32 v141, v141                                   // 00000000F764: 7F1A418D
	v_exp_f32_e32 v142, v142                                   // 00000000F768: 7F1C418E
	v_exp_f32_e32 v143, v143                                   // 00000000F76C: 7F1E418F
	v_mul_f32_dpp v240, v252, v128 quad_perm:[0,0,0,0] row_mask:0xf bank_mask:0xf// 00000000F770: 0BE100FA FF0000FC
	v_mul_f32_dpp v241, v252, v129 quad_perm:[1,1,1,1] row_mask:0xf bank_mask:0xf// 00000000F778: 0BE302FA FF0055FC
	v_mul_f32_dpp v242, v252, v130 quad_perm:[2,2,2,2] row_mask:0xf bank_mask:0xf// 00000000F780: 0BE504FA FF00AAFC
	v_mul_f32_dpp v243, v252, v131 quad_perm:[3,3,3,3] row_mask:0xf bank_mask:0xf// 00000000F788: 0BE706FA FF00FFFC
	v_mul_f32_dpp v244, v253, v132 quad_perm:[0,0,0,0] row_mask:0xf bank_mask:0xf// 00000000F790: 0BE908FA FF0000FD
	v_mul_f32_dpp v245, v253, v133 quad_perm:[1,1,1,1] row_mask:0xf bank_mask:0xf// 00000000F798: 0BEB0AFA FF0055FD
	v_mul_f32_dpp v246, v253, v134 quad_perm:[2,2,2,2] row_mask:0xf bank_mask:0xf// 00000000F7A0: 0BED0CFA FF00AAFD
	v_mul_f32_dpp v247, v253, v135 quad_perm:[3,3,3,3] row_mask:0xf bank_mask:0xf// 00000000F7A8: 0BEF0EFA FF00FFFD
	v_mul_f32_dpp v248, v254, v136 quad_perm:[0,0,0,0] row_mask:0xf bank_mask:0xf// 00000000F7B0: 0BF110FA FF0000FE
	v_mul_f32_dpp v249, v254, v137 quad_perm:[1,1,1,1] row_mask:0xf bank_mask:0xf// 00000000F7B8: 0BF312FA FF0055FE
	v_mul_f32_dpp v250, v254, v138 quad_perm:[2,2,2,2] row_mask:0xf bank_mask:0xf// 00000000F7C0: 0BF514FA FF00AAFE
	v_mul_f32_dpp v251, v254, v139 quad_perm:[3,3,3,3] row_mask:0xf bank_mask:0xf// 00000000F7C8: 0BF716FA FF00FFFE
	v_mul_f32_dpp v252, v255, v140 quad_perm:[0,0,0,0] row_mask:0xf bank_mask:0xf// 00000000F7D0: 0BF918FA FF0000FF
	v_mul_f32_dpp v253, v255, v141 quad_perm:[1,1,1,1] row_mask:0xf bank_mask:0xf// 00000000F7D8: 0BFB1AFA FF0055FF
	v_mul_f32_dpp v254, v255, v142 quad_perm:[2,2,2,2] row_mask:0xf bank_mask:0xf// 00000000F7E0: 0BFD1CFA FF00AAFF
	v_mul_f32_dpp v255, v255, v143 quad_perm:[3,3,3,3] row_mask:0xf bank_mask:0xf// 00000000F7E8: 0BFF1EFA FF00FFFF
	v_mov_b32_e32 v48, 0x358637bd                              // 00000000F7F0: 7E6002FF 358637BD
	v_max3_f32 v48, |v240|, |v241|, v48                        // 00000000F7F8: D1D30330 04C3E3F0
	v_max3_f32 v48, |v242|, |v243|, v48                        // 00000000F800: D1D30330 04C3E7F2
	v_max3_f32 v48, |v244|, |v245|, v48                        // 00000000F808: D1D30330 04C3EBF4
	v_max3_f32 v48, |v246|, |v247|, v48                        // 00000000F810: D1D30330 04C3EFF6
	v_max3_f32 v48, |v248|, |v249|, v48                        // 00000000F818: D1D30330 04C3F3F8
	v_max3_f32 v48, |v250|, |v251|, v48                        // 00000000F820: D1D30330 04C3F7FA
	v_max3_f32 v48, |v252|, |v253|, v48                        // 00000000F828: D1D30330 04C3FBFC
	v_max3_f32 v48, |v254|, |v255|, v48                        // 00000000F830: D1D30330 04C3FFFE
	ds_write_b32 v8, v48 offset:20992                          // 00000000F838: D81A5200 00003008
	v_sub_f32_e32 v50, v12, v15                                // 00000000F840: 04641F0C
	v_cndmask_b32_e64 v50, v50, 0, s[40:41]                    // 00000000F844: D1000032 00A10132
	v_mov_b32_e32 v12, v15                                     // 00000000F84C: 7E18030F
	v_mul_f32_e32 v50, s64, v50                                // 00000000F850: 0A646440
	v_exp_f32_e32 v50, v50                                     // 00000000F854: 7E644132
	s_waitcnt lgkmcnt(0)                                       // 00000000F858: BF8CC07F
	s_barrier                                                  // 00000000F85C: BF8A0000
	ds_read_b32 v64, v7 offset:20992                           // 00000000F860: D86C5200 40000007
	ds_read_b32 v65, v7 offset:21056                           // 00000000F868: D86C5240 41000007
	ds_read_b32 v66, v7 offset:21120                           // 00000000F870: D86C5280 42000007
	ds_read_b32 v67, v7 offset:21184                           // 00000000F878: D86C52C0 43000007
	ds_read_b32 v68, v7 offset:21248                           // 00000000F880: D86C5300 44000007
	ds_read_b32 v69, v7 offset:21312                           // 00000000F888: D86C5340 45000007
	ds_read_b32 v70, v7 offset:21376                           // 00000000F890: D86C5380 46000007
	ds_read_b32 v71, v7 offset:21440                           // 00000000F898: D86C53C0 47000007
	ds_read_b32 v72, v7 offset:21504                           // 00000000F8A0: D86C5400 48000007
	ds_read_b32 v73, v7 offset:21568                           // 00000000F8A8: D86C5440 49000007
	ds_read_b32 v74, v7 offset:21632                           // 00000000F8B0: D86C5480 4A000007
	ds_read_b32 v75, v7 offset:21696                           // 00000000F8B8: D86C54C0 4B000007
	ds_read_b32 v76, v7 offset:21760                           // 00000000F8C0: D86C5500 4C000007
	ds_read_b32 v77, v7 offset:21824                           // 00000000F8C8: D86C5540 4D000007
	ds_read_b32 v78, v7 offset:21888                           // 00000000F8D0: D86C5580 4E000007
	ds_read_b32 v79, v7 offset:21952                           // 00000000F8D8: D86C55C0 4F000007
	v_mul_f32_e32 v39, v50, v39                                // 00000000F8E0: 0A4E4F32
	v_mov_b32_e32 v15, v128                                    // 00000000F8E4: 7E1E0380
	v_add_f32_e32 v15, v129, v15                               // 00000000F8E8: 021E1F81
	v_add_f32_e32 v15, v130, v15                               // 00000000F8EC: 021E1F82
	v_add_f32_e32 v15, v131, v15                               // 00000000F8F0: 021E1F83
	v_add_f32_e32 v15, v132, v15                               // 00000000F8F4: 021E1F84
	v_add_f32_e32 v15, v133, v15                               // 00000000F8F8: 021E1F85
	v_add_f32_e32 v15, v134, v15                               // 00000000F8FC: 021E1F86
	v_add_f32_e32 v15, v135, v15                               // 00000000F900: 021E1F87
	v_add_f32_e32 v15, v136, v15                               // 00000000F904: 021E1F88
	v_add_f32_e32 v15, v137, v15                               // 00000000F908: 021E1F89
	v_add_f32_e32 v15, v138, v15                               // 00000000F90C: 021E1F8A
	v_add_f32_e32 v15, v139, v15                               // 00000000F910: 021E1F8B
	v_add_f32_e32 v15, v140, v15                               // 00000000F914: 021E1F8C
	v_add_f32_e32 v15, v141, v15                               // 00000000F918: 021E1F8D
	v_add_f32_e32 v15, v142, v15                               // 00000000F91C: 021E1F8E
	v_add_f32_e32 v15, v143, v15                               // 00000000F920: 021E1F8F
	v_add_f32_e32 v39, v15, v39                                // 00000000F924: 024E4F0F
	s_waitcnt lgkmcnt(0)                                       // 00000000F928: BF8CC07F
	v_max3_f32 v48, |v64|, |v65|, v48                          // 00000000F92C: D1D30330 04C28340
	v_max3_f32 v48, |v66|, |v67|, v48                          // 00000000F934: D1D30330 04C28742
	v_max3_f32 v48, |v68|, |v69|, v48                          // 00000000F93C: D1D30330 04C28B44
	v_max3_f32 v48, |v70|, |v71|, v48                          // 00000000F944: D1D30330 04C28F46
	v_max3_f32 v48, |v72|, |v73|, v48                          // 00000000F94C: D1D30330 04C29348
	v_max3_f32 v48, |v74|, |v75|, v48                          // 00000000F954: D1D30330 04C2974A
	v_max3_f32 v48, |v76|, |v77|, v48                          // 00000000F95C: D1D30330 04C29B4C
	v_max3_f32 v48, |v78|, |v79|, v48                          // 00000000F964: D1D30330 04C29F4E
	s_nop 2                                                    // 00000000F96C: BF800002
	v_rcp_f32_e32 v48, v48                                     // 00000000F970: 7E604530
	s_nop 1                                                    // 00000000F974: BF800001
	v_mul_f32_e32 v48, 0x43e00000, v48                         // 00000000F978: 0A6060FF 43E00000
	v_mul_f32_e32 v128, v48, v240                              // 00000000F980: 0B01E130
	v_mul_f32_e32 v129, v48, v241                              // 00000000F984: 0B03E330
	v_mul_f32_e32 v130, v48, v242                              // 00000000F988: 0B05E530
	v_mul_f32_e32 v131, v48, v243                              // 00000000F98C: 0B07E730
	v_mul_f32_e32 v132, v48, v244                              // 00000000F990: 0B09E930
	v_mul_f32_e32 v133, v48, v245                              // 00000000F994: 0B0BEB30
	v_mul_f32_e32 v134, v48, v246                              // 00000000F998: 0B0DED30
	v_mul_f32_e32 v135, v48, v247                              // 00000000F99C: 0B0FEF30
	v_mul_f32_e32 v136, v48, v248                              // 00000000F9A0: 0B11F130
	v_mul_f32_e32 v137, v48, v249                              // 00000000F9A4: 0B13F330
	v_mul_f32_e32 v138, v48, v250                              // 00000000F9A8: 0B15F530
	v_mul_f32_e32 v139, v48, v251                              // 00000000F9AC: 0B17F730
	v_mul_f32_e32 v140, v48, v252                              // 00000000F9B0: 0B19F930
	v_mul_f32_e32 v141, v48, v253                              // 00000000F9B4: 0B1BFB30
	v_mul_f32_e32 v142, v48, v254                              // 00000000F9B8: 0B1DFD30
	v_mul_f32_e32 v143, v48, v255                              // 00000000F9BC: 0B1FFF30
	v_cvt_pk_fp8_f32 v128, v128, v129                          // 00000000F9C0: D2A20080 00030380
	v_cvt_pk_fp8_f32 v128, v130, v131 op_sel:[0,0,1]           // 00000000F9C8: D2A24080 00030782
	v_cvt_pk_fp8_f32 v129, v132, v133                          // 00000000F9D0: D2A20081 00030B84
	v_cvt_pk_fp8_f32 v129, v134, v135 op_sel:[0,0,1]           // 00000000F9D8: D2A24081 00030F86
	v_cvt_pk_fp8_f32 v130, v136, v137                          // 00000000F9E0: D2A20082 00031388
	v_cvt_pk_fp8_f32 v130, v138, v139 op_sel:[0,0,1]           // 00000000F9E8: D2A24082 0003178A
	v_cvt_pk_fp8_f32 v131, v140, v141                          // 00000000F9F0: D2A20083 00031B8C
	v_cvt_pk_fp8_f32 v131, v142, v143 op_sel:[0,0,1]           // 00000000F9F8: D2A24083 00031F8E
	ds_write_b32 v10, v128 offset:29184                        // 00000000FA00: D81A7200 0000800A
	ds_write_b32 v10, v129 offset:30208                        // 00000000FA08: D81A7600 0000810A
	ds_write_b32 v10, v130 offset:31232                        // 00000000FA10: D81A7A00 0000820A
	ds_write_b32 v10, v131 offset:32256                        // 00000000FA18: D81A7E00 0000830A
	v_add_f32_e32 v216, v216, v184                             // 00000000FA20: 03B171D8
	v_add_f32_e32 v217, v217, v185                             // 00000000FA24: 03B373D9
	v_add_f32_e32 v218, v218, v186                             // 00000000FA28: 03B575DA
	v_add_f32_e32 v219, v219, v187                             // 00000000FA2C: 03B777DB
	v_add_f32_e32 v220, v220, v188                             // 00000000FA30: 03B979DC
	v_add_f32_e32 v221, v221, v189                             // 00000000FA34: 03BB7BDD
	v_add_f32_e32 v222, v222, v190                             // 00000000FA38: 03BD7DDE
	v_add_f32_e32 v223, v223, v191                             // 00000000FA3C: 03BF7FDF
	v_rcp_f32_e32 v45, v48                                     // 00000000FA40: 7E5A4530
	s_waitcnt lgkmcnt(0)                                       // 00000000FA44: BF8CC07F
	s_barrier                                                  // 00000000FA48: BF8A0000
	ds_read_b64 v[128:129], v9 offset:29184                    // 00000000FA4C: D8EC7200 80000009
	ds_read_b64 v[130:131], v9 offset:29312                    // 00000000FA54: D8EC7280 82000009
	ds_read_b64 v[132:133], v9 offset:30208                    // 00000000FA5C: D8EC7600 84000009
	ds_read_b64 v[134:135], v9 offset:30336                    // 00000000FA64: D8EC7680 86000009
	ds_read_b64 v[136:137], v9 offset:31232                    // 00000000FA6C: D8EC7A00 88000009
	ds_read_b64 v[138:139], v9 offset:31360                    // 00000000FA74: D8EC7A80 8A000009
	ds_read_b64 v[140:141], v9 offset:32256                    // 00000000FA7C: D8EC7E00 8C000009
	ds_read_b64 v[142:143], v9 offset:32384                    // 00000000FA84: D8EC7E80 8E000009
	v_mov_b32_dpp v64, v42 row_shr:4 row_mask:0xf bank_mask:0xf// 00000000FA8C: 7E8002FA FF01142A
	v_mov_b32_dpp v65, v42 row_shl:4 row_mask:0xf bank_mask:0xf// 00000000FA94: 7E8202FA FF01042A
	v_cndmask_b32_e64 v248, v42, v64, s[44:45]                 // 00000000FA9C: D10000F8 00B2812A
	v_cndmask_b32_e64 v249, v65, v42, s[44:45]                 // 00000000FAA4: D10000F9 00B25541
	v_mov_b32_dpp v64, v248 row_shr:8 row_mask:0xf bank_mask:0xf// 00000000FAAC: 7E8002FA FF0118F8
	v_mov_b32_dpp v65, v248 row_shl:8 row_mask:0xf bank_mask:0xf// 00000000FAB4: 7E8202FA FF0108F8
	v_mov_b32_dpp v66, v249 row_shr:8 row_mask:0xf bank_mask:0xf// 00000000FABC: 7E8402FA FF0118F9
	v_mov_b32_dpp v67, v249 row_shl:8 row_mask:0xf bank_mask:0xf// 00000000FAC4: 7E8602FA FF0108F9
	v_mov_b32_e32 v68, v248                                    // 00000000FACC: 7E8803F8
	v_mov_b32_e32 v69, v249                                    // 00000000FAD0: 7E8A03F9
	v_cndmask_b32_e64 v248, v68, v64, s[42:43]                 // 00000000FAD4: D10000F8 00AA8144
	v_cndmask_b32_e64 v250, v68, v65, s[78:79]                 // 00000000FADC: D10000FA 013A8344
	v_cndmask_b32_e64 v249, v69, v66, s[42:43]                 // 00000000FAE4: D10000F9 00AA8545
	v_cndmask_b32_e64 v251, v69, v67, s[78:79]                 // 00000000FAEC: D10000FB 013A8745
	v_mov_b32_dpp v64, v57 row_shr:4 row_mask:0xf bank_mask:0xf// 00000000FAF4: 7E8002FA FF011439
	v_mov_b32_dpp v65, v57 row_shl:4 row_mask:0xf bank_mask:0xf// 00000000FAFC: 7E8202FA FF010439
	v_cndmask_b32_e64 v252, v57, v64, s[44:45]                 // 00000000FB04: D10000FC 00B28139
	v_cndmask_b32_e64 v253, v65, v57, s[44:45]                 // 00000000FB0C: D10000FD 00B27341
	v_mov_b32_dpp v64, v252 row_shr:8 row_mask:0xf bank_mask:0xf// 00000000FB14: 7E8002FA FF0118FC
	v_mov_b32_dpp v65, v252 row_shl:8 row_mask:0xf bank_mask:0xf// 00000000FB1C: 7E8202FA FF0108FC
	v_mov_b32_dpp v66, v253 row_shr:8 row_mask:0xf bank_mask:0xf// 00000000FB24: 7E8402FA FF0118FD
	v_mov_b32_dpp v67, v253 row_shl:8 row_mask:0xf bank_mask:0xf// 00000000FB2C: 7E8602FA FF0108FD
	v_mov_b32_e32 v68, v252                                    // 00000000FB34: 7E8803FC
	v_mov_b32_e32 v69, v253                                    // 00000000FB38: 7E8A03FD
	v_cndmask_b32_e64 v252, v68, v64, s[42:43]                 // 00000000FB3C: D10000FC 00AA8144
	v_cndmask_b32_e64 v254, v68, v65, s[78:79]                 // 00000000FB44: D10000FE 013A8344
	v_cndmask_b32_e64 v253, v69, v66, s[42:43]                 // 00000000FB4C: D10000FD 00AA8545
	v_cndmask_b32_e64 v255, v69, v67, s[78:79]                 // 00000000FB54: D10000FF 013A8745
	v_mul_f32_e32 v144, v20, v144                              // 00000000FB5C: 0B212114
	v_mul_f32_e32 v145, v20, v145                              // 00000000FB60: 0B232314
	v_mul_f32_e32 v146, v20, v146                              // 00000000FB64: 0B252514
	v_mul_f32_e32 v147, v20, v147                              // 00000000FB68: 0B272714
	v_mul_f32_e32 v148, v20, v148                              // 00000000FB6C: 0B292914
	v_mul_f32_e32 v149, v20, v149                              // 00000000FB70: 0B2B2B14
	v_mul_f32_e32 v150, v20, v150                              // 00000000FB74: 0B2D2D14
	v_mul_f32_e32 v151, v20, v151                              // 00000000FB78: 0B2F2F14
	v_mul_f32_e32 v152, v20, v152                              // 00000000FB7C: 0B313114
	v_mul_f32_e32 v153, v20, v153                              // 00000000FB80: 0B333314
	v_mul_f32_e32 v154, v20, v154                              // 00000000FB84: 0B353514
	v_mul_f32_e32 v155, v20, v155                              // 00000000FB88: 0B373714
	v_mul_f32_e32 v156, v20, v156                              // 00000000FB8C: 0B393914
	v_mul_f32_e32 v157, v20, v157                              // 00000000FB90: 0B3B3B14
	v_mul_f32_e32 v158, v20, v158                              // 00000000FB94: 0B3D3D14
	v_mul_f32_e32 v159, v20, v159                              // 00000000FB98: 0B3F3F14
	v_mul_f32_dpp v144, v248, v144 quad_perm:[0,0,0,0] row_mask:0xf bank_mask:0xf// 00000000FB9C: 0B2120FA FF0000F8
	v_mul_f32_dpp v145, v248, v145 quad_perm:[1,1,1,1] row_mask:0xf bank_mask:0xf// 00000000FBA4: 0B2322FA FF0055F8
	v_mul_f32_dpp v146, v248, v146 quad_perm:[2,2,2,2] row_mask:0xf bank_mask:0xf// 00000000FBAC: 0B2524FA FF00AAF8
	v_mul_f32_dpp v147, v248, v147 quad_perm:[3,3,3,3] row_mask:0xf bank_mask:0xf// 00000000FBB4: 0B2726FA FF00FFF8
	v_mul_f32_dpp v148, v249, v148 quad_perm:[0,0,0,0] row_mask:0xf bank_mask:0xf// 00000000FBBC: 0B2928FA FF0000F9
	v_mul_f32_dpp v149, v249, v149 quad_perm:[1,1,1,1] row_mask:0xf bank_mask:0xf// 00000000FBC4: 0B2B2AFA FF0055F9
	v_mul_f32_dpp v150, v249, v150 quad_perm:[2,2,2,2] row_mask:0xf bank_mask:0xf// 00000000FBCC: 0B2D2CFA FF00AAF9
	v_mul_f32_dpp v151, v249, v151 quad_perm:[3,3,3,3] row_mask:0xf bank_mask:0xf// 00000000FBD4: 0B2F2EFA FF00FFF9
	v_mul_f32_dpp v152, v250, v152 quad_perm:[0,0,0,0] row_mask:0xf bank_mask:0xf// 00000000FBDC: 0B3130FA FF0000FA
	v_mul_f32_dpp v153, v250, v153 quad_perm:[1,1,1,1] row_mask:0xf bank_mask:0xf// 00000000FBE4: 0B3332FA FF0055FA
	v_mul_f32_dpp v154, v250, v154 quad_perm:[2,2,2,2] row_mask:0xf bank_mask:0xf// 00000000FBEC: 0B3534FA FF00AAFA
	v_mul_f32_dpp v155, v250, v155 quad_perm:[3,3,3,3] row_mask:0xf bank_mask:0xf// 00000000FBF4: 0B3736FA FF00FFFA
	v_mul_f32_dpp v156, v251, v156 quad_perm:[0,0,0,0] row_mask:0xf bank_mask:0xf// 00000000FBFC: 0B3938FA FF0000FB
	v_mul_f32_dpp v157, v251, v157 quad_perm:[1,1,1,1] row_mask:0xf bank_mask:0xf// 00000000FC04: 0B3B3AFA FF0055FB
	v_mul_f32_dpp v158, v251, v158 quad_perm:[2,2,2,2] row_mask:0xf bank_mask:0xf// 00000000FC0C: 0B3D3CFA FF00AAFB
	v_mul_f32_dpp v159, v251, v159 quad_perm:[3,3,3,3] row_mask:0xf bank_mask:0xf// 00000000FC14: 0B3F3EFA FF00FFFB
	v_mov_b32_e32 v48, v144                                    // 00000000FC1C: 7E600390
	v_max3_f32 v48, v144, v145, v48                            // 00000000FC20: D1D30030 04C32390
	v_max3_f32 v48, v146, v147, v48                            // 00000000FC28: D1D30030 04C32792
	v_max3_f32 v48, v148, v149, v48                            // 00000000FC30: D1D30030 04C32B94
	v_max3_f32 v48, v150, v151, v48                            // 00000000FC38: D1D30030 04C32F96
	v_max3_f32 v48, v152, v153, v48                            // 00000000FC40: D1D30030 04C33398
	v_max3_f32 v48, v154, v155, v48                            // 00000000FC48: D1D30030 04C3379A
	v_max3_f32 v48, v156, v157, v48                            // 00000000FC50: D1D30030 04C33B9C
	v_max3_f32 v48, v158, v159, v48                            // 00000000FC58: D1D30030 04C33F9E
	ds_write_b32 v8, v48 offset:16896                          // 00000000FC60: D81A4200 00003008
	v_mul_f32_e32 v224, v51, v224                              // 00000000FC68: 0BC1C133
	v_mul_f32_e32 v225, v51, v225                              // 00000000FC6C: 0BC3C333
	v_mul_f32_e32 v226, v51, v226                              // 00000000FC70: 0BC5C533
	v_mul_f32_e32 v227, v51, v227                              // 00000000FC74: 0BC7C733
	v_mul_f32_e32 v228, v51, v228                              // 00000000FC78: 0BC9C933
	v_mul_f32_e32 v229, v51, v229                              // 00000000FC7C: 0BCBCB33
	v_mul_f32_e32 v230, v51, v230                              // 00000000FC80: 0BCDCD33
	v_mul_f32_e32 v231, v51, v231                              // 00000000FC84: 0BCFCF33
	s_waitcnt lgkmcnt(0)                                       // 00000000FC88: BF8CC07F
	s_barrier                                                  // 00000000FC8C: BF8A0000
	ds_read_b32 v64, v7 offset:16896                           // 00000000FC90: D86C4200 40000007
	ds_read_b32 v65, v7 offset:16960                           // 00000000FC98: D86C4240 41000007
	ds_read_b32 v66, v7 offset:17024                           // 00000000FCA0: D86C4280 42000007
	ds_read_b32 v67, v7 offset:17088                           // 00000000FCA8: D86C42C0 43000007
	ds_read_b32 v68, v7 offset:17152                           // 00000000FCB0: D86C4300 44000007
	ds_read_b32 v69, v7 offset:17216                           // 00000000FCB8: D86C4340 45000007
	ds_read_b32 v70, v7 offset:17280                           // 00000000FCC0: D86C4380 46000007
	ds_read_b32 v71, v7 offset:17344                           // 00000000FCC8: D86C43C0 47000007
	ds_read_b32 v72, v7 offset:17408                           // 00000000FCD0: D86C4400 48000007
	ds_read_b32 v73, v7 offset:17472                           // 00000000FCD8: D86C4440 49000007
	ds_read_b32 v74, v7 offset:17536                           // 00000000FCE0: D86C4480 4A000007
	ds_read_b32 v75, v7 offset:17600                           // 00000000FCE8: D86C44C0 4B000007
	ds_read_b32 v76, v7 offset:17664                           // 00000000FCF0: D86C4500 4C000007
	ds_read_b32 v77, v7 offset:17728                           // 00000000FCF8: D86C4540 4D000007
	ds_read_b32 v78, v7 offset:17792                           // 00000000FD00: D86C4580 4E000007
	ds_read_b32 v79, v7 offset:17856                           // 00000000FD08: D86C45C0 4F000007
	v_mul_f32_e32 v192, v46, v192                              // 00000000FD10: 0B81812E
	v_mul_f32_e32 v193, v46, v193                              // 00000000FD14: 0B83832E
	v_mul_f32_e32 v194, v46, v194                              // 00000000FD18: 0B85852E
	v_mul_f32_e32 v195, v46, v195                              // 00000000FD1C: 0B87872E
	v_mul_f32_e32 v196, v46, v196                              // 00000000FD20: 0B89892E
	v_mul_f32_e32 v197, v46, v197                              // 00000000FD24: 0B8B8B2E
	v_mul_f32_e32 v198, v46, v198                              // 00000000FD28: 0B8D8D2E
	v_mul_f32_e32 v199, v46, v199                              // 00000000FD2C: 0B8F8F2E
	s_waitcnt lgkmcnt(0)                                       // 00000000FD30: BF8CC07F
	v_max3_f32 v48, v64, v65, v48                              // 00000000FD34: D1D30030 04C28340
	v_max3_f32 v48, v66, v67, v48                              // 00000000FD3C: D1D30030 04C28742
	v_max3_f32 v48, v68, v69, v48                              // 00000000FD44: D1D30030 04C28B44
	v_max3_f32 v48, v70, v71, v48                              // 00000000FD4C: D1D30030 04C28F46
	v_max3_f32 v48, v72, v73, v48                              // 00000000FD54: D1D30030 04C29348
	v_max3_f32 v48, v74, v75, v48                              // 00000000FD5C: D1D30030 04C2974A
	v_max3_f32 v48, v76, v77, v48                              // 00000000FD64: D1D30030 04C29B4C
	v_max3_f32 v48, v78, v79, v48                              // 00000000FD6C: D1D30030 04C29F4E
	v_mov_b32_e32 v64, 0xff800000                              // 00000000FD74: 7E8002FF FF800000
	v_cmp_eq_u32_e64 s[40:41], v64, v13                        // 00000000FD7C: D0CA0028 00021B40
	s_nop 1                                                    // 00000000FD84: BF800001
	v_max_f32_e32 v15, v48, v13                                // 00000000FD88: 161E1B30
	v_mul_f32_e32 v53, s64, v15                                // 00000000FD8C: 0A6A1E40
	v_fma_f32 v144, v144, s64, -v53                            // 00000000FD90: D1CB0090 84D48190
	v_fma_f32 v145, v145, s64, -v53                            // 00000000FD98: D1CB0091 84D48191
	v_fma_f32 v146, v146, s64, -v53                            // 00000000FDA0: D1CB0092 84D48192
	v_fma_f32 v147, v147, s64, -v53                            // 00000000FDA8: D1CB0093 84D48193
	v_fma_f32 v148, v148, s64, -v53                            // 00000000FDB0: D1CB0094 84D48194
	v_fma_f32 v149, v149, s64, -v53                            // 00000000FDB8: D1CB0095 84D48195
	v_fma_f32 v150, v150, s64, -v53                            // 00000000FDC0: D1CB0096 84D48196
	v_fma_f32 v151, v151, s64, -v53                            // 00000000FDC8: D1CB0097 84D48197
	v_fma_f32 v152, v152, s64, -v53                            // 00000000FDD0: D1CB0098 84D48198
	v_fma_f32 v153, v153, s64, -v53                            // 00000000FDD8: D1CB0099 84D48199
	v_fma_f32 v154, v154, s64, -v53                            // 00000000FDE0: D1CB009A 84D4819A
	v_fma_f32 v155, v155, s64, -v53                            // 00000000FDE8: D1CB009B 84D4819B
	v_fma_f32 v156, v156, s64, -v53                            // 00000000FDF0: D1CB009C 84D4819C
	v_fma_f32 v157, v157, s64, -v53                            // 00000000FDF8: D1CB009D 84D4819D
	v_fma_f32 v158, v158, s64, -v53                            // 00000000FE00: D1CB009E 84D4819E
	v_fma_f32 v159, v159, s64, -v53                            // 00000000FE08: D1CB009F 84D4819F
	v_exp_f32_e32 v144, v144                                   // 00000000FE10: 7F204190
	v_exp_f32_e32 v145, v145                                   // 00000000FE14: 7F224191
	v_exp_f32_e32 v146, v146                                   // 00000000FE18: 7F244192
	v_exp_f32_e32 v147, v147                                   // 00000000FE1C: 7F264193
	v_exp_f32_e32 v148, v148                                   // 00000000FE20: 7F284194
	v_exp_f32_e32 v149, v149                                   // 00000000FE24: 7F2A4195
	v_exp_f32_e32 v150, v150                                   // 00000000FE28: 7F2C4196
	v_exp_f32_e32 v151, v151                                   // 00000000FE2C: 7F2E4197
	v_exp_f32_e32 v152, v152                                   // 00000000FE30: 7F304198
	v_exp_f32_e32 v153, v153                                   // 00000000FE34: 7F324199
	v_exp_f32_e32 v154, v154                                   // 00000000FE38: 7F34419A
	v_exp_f32_e32 v155, v155                                   // 00000000FE3C: 7F36419B
	v_exp_f32_e32 v156, v156                                   // 00000000FE40: 7F38419C
	v_exp_f32_e32 v157, v157                                   // 00000000FE44: 7F3A419D
	v_exp_f32_e32 v158, v158                                   // 00000000FE48: 7F3C419E
	v_exp_f32_e32 v159, v159                                   // 00000000FE4C: 7F3E419F
	v_mul_f32_dpp v240, v252, v144 quad_perm:[0,0,0,0] row_mask:0xf bank_mask:0xf// 00000000FE50: 0BE120FA FF0000FC
	v_mul_f32_dpp v241, v252, v145 quad_perm:[1,1,1,1] row_mask:0xf bank_mask:0xf// 00000000FE58: 0BE322FA FF0055FC
	v_mul_f32_dpp v242, v252, v146 quad_perm:[2,2,2,2] row_mask:0xf bank_mask:0xf// 00000000FE60: 0BE524FA FF00AAFC
	v_mul_f32_dpp v243, v252, v147 quad_perm:[3,3,3,3] row_mask:0xf bank_mask:0xf// 00000000FE68: 0BE726FA FF00FFFC
	v_mul_f32_dpp v244, v253, v148 quad_perm:[0,0,0,0] row_mask:0xf bank_mask:0xf// 00000000FE70: 0BE928FA FF0000FD
	v_mul_f32_dpp v245, v253, v149 quad_perm:[1,1,1,1] row_mask:0xf bank_mask:0xf// 00000000FE78: 0BEB2AFA FF0055FD
	v_mul_f32_dpp v246, v253, v150 quad_perm:[2,2,2,2] row_mask:0xf bank_mask:0xf// 00000000FE80: 0BED2CFA FF00AAFD
	v_mul_f32_dpp v247, v253, v151 quad_perm:[3,3,3,3] row_mask:0xf bank_mask:0xf// 00000000FE88: 0BEF2EFA FF00FFFD
	v_mul_f32_dpp v248, v254, v152 quad_perm:[0,0,0,0] row_mask:0xf bank_mask:0xf// 00000000FE90: 0BF130FA FF0000FE
	v_mul_f32_dpp v249, v254, v153 quad_perm:[1,1,1,1] row_mask:0xf bank_mask:0xf// 00000000FE98: 0BF332FA FF0055FE
	v_mul_f32_dpp v250, v254, v154 quad_perm:[2,2,2,2] row_mask:0xf bank_mask:0xf// 00000000FEA0: 0BF534FA FF00AAFE
	v_mul_f32_dpp v251, v254, v155 quad_perm:[3,3,3,3] row_mask:0xf bank_mask:0xf// 00000000FEA8: 0BF736FA FF00FFFE
	v_mul_f32_dpp v252, v255, v156 quad_perm:[0,0,0,0] row_mask:0xf bank_mask:0xf// 00000000FEB0: 0BF938FA FF0000FF
	v_mul_f32_dpp v253, v255, v157 quad_perm:[1,1,1,1] row_mask:0xf bank_mask:0xf// 00000000FEB8: 0BFB3AFA FF0055FF
	v_mul_f32_dpp v254, v255, v158 quad_perm:[2,2,2,2] row_mask:0xf bank_mask:0xf// 00000000FEC0: 0BFD3CFA FF00AAFF
	v_mul_f32_dpp v255, v255, v159 quad_perm:[3,3,3,3] row_mask:0xf bank_mask:0xf// 00000000FEC8: 0BFF3EFA FF00FFFF
	v_mov_b32_e32 v48, 0x358637bd                              // 00000000FED0: 7E6002FF 358637BD
	v_max3_f32 v48, |v240|, |v241|, v48                        // 00000000FED8: D1D30330 04C3E3F0
	v_max3_f32 v48, |v242|, |v243|, v48                        // 00000000FEE0: D1D30330 04C3E7F2
	v_max3_f32 v48, |v244|, |v245|, v48                        // 00000000FEE8: D1D30330 04C3EBF4
	v_max3_f32 v48, |v246|, |v247|, v48                        // 00000000FEF0: D1D30330 04C3EFF6
	v_max3_f32 v48, |v248|, |v249|, v48                        // 00000000FEF8: D1D30330 04C3F3F8
	v_max3_f32 v48, |v250|, |v251|, v48                        // 00000000FF00: D1D30330 04C3F7FA
	v_max3_f32 v48, |v252|, |v253|, v48                        // 00000000FF08: D1D30330 04C3FBFC
	v_max3_f32 v48, |v254|, |v255|, v48                        // 00000000FF10: D1D30330 04C3FFFE
	ds_write_b32 v8, v48 offset:20992                          // 00000000FF18: D81A5200 00003008
	v_sub_f32_e32 v51, v13, v15                                // 00000000FF20: 04661F0D
	v_cndmask_b32_e64 v51, v51, 0, s[40:41]                    // 00000000FF24: D1000033 00A10133
	v_mov_b32_e32 v13, v15                                     // 00000000FF2C: 7E1A030F
	v_mul_f32_e32 v51, s64, v51                                // 00000000FF30: 0A666640
	v_exp_f32_e32 v51, v51                                     // 00000000FF34: 7E664133
	s_waitcnt lgkmcnt(0)                                       // 00000000FF38: BF8CC07F
	s_barrier                                                  // 00000000FF3C: BF8A0000
	ds_read_b32 v64, v7 offset:20992                           // 00000000FF40: D86C5200 40000007
	ds_read_b32 v65, v7 offset:21056                           // 00000000FF48: D86C5240 41000007
	ds_read_b32 v66, v7 offset:21120                           // 00000000FF50: D86C5280 42000007
	ds_read_b32 v67, v7 offset:21184                           // 00000000FF58: D86C52C0 43000007
	ds_read_b32 v68, v7 offset:21248                           // 00000000FF60: D86C5300 44000007
	ds_read_b32 v69, v7 offset:21312                           // 00000000FF68: D86C5340 45000007
	ds_read_b32 v70, v7 offset:21376                           // 00000000FF70: D86C5380 46000007
	ds_read_b32 v71, v7 offset:21440                           // 00000000FF78: D86C53C0 47000007
	ds_read_b32 v72, v7 offset:21504                           // 00000000FF80: D86C5400 48000007
	ds_read_b32 v73, v7 offset:21568                           // 00000000FF88: D86C5440 49000007
	ds_read_b32 v74, v7 offset:21632                           // 00000000FF90: D86C5480 4A000007
	ds_read_b32 v75, v7 offset:21696                           // 00000000FF98: D86C54C0 4B000007
	ds_read_b32 v76, v7 offset:21760                           // 00000000FFA0: D86C5500 4C000007
	ds_read_b32 v77, v7 offset:21824                           // 00000000FFA8: D86C5540 4D000007
	ds_read_b32 v78, v7 offset:21888                           // 00000000FFB0: D86C5580 4E000007
	ds_read_b32 v79, v7 offset:21952                           // 00000000FFB8: D86C55C0 4F000007
	v_mul_f32_e32 v40, v51, v40                                // 00000000FFC0: 0A505133
	v_mov_b32_e32 v15, v144                                    // 00000000FFC4: 7E1E0390
	v_add_f32_e32 v15, v145, v15                               // 00000000FFC8: 021E1F91
	v_add_f32_e32 v15, v146, v15                               // 00000000FFCC: 021E1F92
	v_add_f32_e32 v15, v147, v15                               // 00000000FFD0: 021E1F93
	v_add_f32_e32 v15, v148, v15                               // 00000000FFD4: 021E1F94
	v_add_f32_e32 v15, v149, v15                               // 00000000FFD8: 021E1F95
	v_add_f32_e32 v15, v150, v15                               // 00000000FFDC: 021E1F96
	v_add_f32_e32 v15, v151, v15                               // 00000000FFE0: 021E1F97
	v_add_f32_e32 v15, v152, v15                               // 00000000FFE4: 021E1F98
	v_add_f32_e32 v15, v153, v15                               // 00000000FFE8: 021E1F99
	v_add_f32_e32 v15, v154, v15                               // 00000000FFEC: 021E1F9A
	v_add_f32_e32 v15, v155, v15                               // 00000000FFF0: 021E1F9B
	v_add_f32_e32 v15, v156, v15                               // 00000000FFF4: 021E1F9C
	v_add_f32_e32 v15, v157, v15                               // 00000000FFF8: 021E1F9D
	v_add_f32_e32 v15, v158, v15                               // 00000000FFFC: 021E1F9E
	v_add_f32_e32 v15, v159, v15                               // 000000010000: 021E1F9F
	v_add_f32_e32 v40, v15, v40                                // 000000010004: 0250510F
	s_waitcnt lgkmcnt(0)                                       // 000000010008: BF8CC07F
	v_max3_f32 v48, |v64|, |v65|, v48                          // 00000001000C: D1D30330 04C28340
	v_max3_f32 v48, |v66|, |v67|, v48                          // 000000010014: D1D30330 04C28742
	v_max3_f32 v48, |v68|, |v69|, v48                          // 00000001001C: D1D30330 04C28B44
	v_max3_f32 v48, |v70|, |v71|, v48                          // 000000010024: D1D30330 04C28F46
	v_max3_f32 v48, |v72|, |v73|, v48                          // 00000001002C: D1D30330 04C29348
	v_max3_f32 v48, |v74|, |v75|, v48                          // 000000010034: D1D30330 04C2974A
	v_max3_f32 v48, |v76|, |v77|, v48                          // 00000001003C: D1D30330 04C29B4C
	v_max3_f32 v48, |v78|, |v79|, v48                          // 000000010044: D1D30330 04C29F4E
	s_nop 2                                                    // 00000001004C: BF800002
	v_rcp_f32_e32 v48, v48                                     // 000000010050: 7E604530
	s_nop 1                                                    // 000000010054: BF800001
	v_mul_f32_e32 v48, 0x43e00000, v48                         // 000000010058: 0A6060FF 43E00000
	v_mul_f32_e32 v144, v48, v240                              // 000000010060: 0B21E130
	v_mul_f32_e32 v145, v48, v241                              // 000000010064: 0B23E330
	v_mul_f32_e32 v146, v48, v242                              // 000000010068: 0B25E530
	v_mul_f32_e32 v147, v48, v243                              // 00000001006C: 0B27E730
	v_mul_f32_e32 v148, v48, v244                              // 000000010070: 0B29E930
	v_mul_f32_e32 v149, v48, v245                              // 000000010074: 0B2BEB30
	v_mul_f32_e32 v150, v48, v246                              // 000000010078: 0B2DED30
	v_mul_f32_e32 v151, v48, v247                              // 00000001007C: 0B2FEF30
	v_mul_f32_e32 v152, v48, v248                              // 000000010080: 0B31F130
	v_mul_f32_e32 v153, v48, v249                              // 000000010084: 0B33F330
	v_mul_f32_e32 v154, v48, v250                              // 000000010088: 0B35F530
	v_mul_f32_e32 v155, v48, v251                              // 00000001008C: 0B37F730
	v_mul_f32_e32 v156, v48, v252                              // 000000010090: 0B39F930
	v_mul_f32_e32 v157, v48, v253                              // 000000010094: 0B3BFB30
	v_mul_f32_e32 v158, v48, v254                              // 000000010098: 0B3DFD30
	v_mul_f32_e32 v159, v48, v255                              // 00000001009C: 0B3FFF30
	v_cvt_pk_fp8_f32 v144, v144, v145                          // 0000000100A0: D2A20090 00032390
	v_cvt_pk_fp8_f32 v144, v146, v147 op_sel:[0,0,1]           // 0000000100A8: D2A24090 00032792
	v_cvt_pk_fp8_f32 v145, v148, v149                          // 0000000100B0: D2A20091 00032B94
	v_cvt_pk_fp8_f32 v145, v150, v151 op_sel:[0,0,1]           // 0000000100B8: D2A24091 00032F96
	v_cvt_pk_fp8_f32 v146, v152, v153                          // 0000000100C0: D2A20092 00033398
	v_cvt_pk_fp8_f32 v146, v154, v155 op_sel:[0,0,1]           // 0000000100C8: D2A24092 0003379A
	v_cvt_pk_fp8_f32 v147, v156, v157                          // 0000000100D0: D2A20093 00033B9C
	v_cvt_pk_fp8_f32 v147, v158, v159 op_sel:[0,0,1]           // 0000000100D8: D2A24093 00033F9E
	ds_write_b32 v10, v144 offset:33280                        // 0000000100E0: D81A8200 0000900A
	ds_write_b32 v10, v145 offset:34304                        // 0000000100E8: D81A8600 0000910A
	ds_write_b32 v10, v146 offset:35328                        // 0000000100F0: D81A8A00 0000920A
	ds_write_b32 v10, v147 offset:36352                        // 0000000100F8: D81A8E00 0000930A
	v_add_f32_e32 v224, v224, v192                             // 000000010100: 03C181E0
	v_add_f32_e32 v225, v225, v193                             // 000000010104: 03C383E1
	v_add_f32_e32 v226, v226, v194                             // 000000010108: 03C585E2
	v_add_f32_e32 v227, v227, v195                             // 00000001010C: 03C787E3
	v_add_f32_e32 v228, v228, v196                             // 000000010110: 03C989E4
	v_add_f32_e32 v229, v229, v197                             // 000000010114: 03CB8BE5
	v_add_f32_e32 v230, v230, v198                             // 000000010118: 03CD8DE6
	v_add_f32_e32 v231, v231, v199                             // 00000001011C: 03CF8FE7
	v_rcp_f32_e32 v46, v48                                     // 000000010120: 7E5C4530
	s_waitcnt lgkmcnt(0)                                       // 000000010124: BF8CC07F
	s_barrier                                                  // 000000010128: BF8A0000
	ds_read_b64 v[144:145], v9 offset:33280                    // 00000001012C: D8EC8200 90000009
	ds_read_b64 v[146:147], v9 offset:33408                    // 000000010134: D8EC8280 92000009
	ds_read_b64 v[148:149], v9 offset:34304                    // 00000001013C: D8EC8600 94000009
	ds_read_b64 v[150:151], v9 offset:34432                    // 000000010144: D8EC8680 96000009
	ds_read_b64 v[152:153], v9 offset:35328                    // 00000001014C: D8EC8A00 98000009
	ds_read_b64 v[154:155], v9 offset:35456                    // 000000010154: D8EC8A80 9A000009
	ds_read_b64 v[156:157], v9 offset:36352                    // 00000001015C: D8EC8E00 9C000009
	ds_read_b64 v[158:159], v9 offset:36480                    // 000000010164: D8EC8E80 9E000009
	s_waitcnt vmcnt(15)                                        // 00000001016C: BF8C0F7F
	v_mfma_f32_16x16x32_fp8_fp8 v[176:179], a[64:65], v[112:113], 0// 000000010170: D3F300B0 0A02E140
	v_mfma_f32_16x16x32_fp8_fp8 v[176:179], a[66:67], v[114:115], v[176:179]// 000000010178: D3F300B0 0EC2E542
	buffer_load_dwordx4 a[112:115], v34, s[20:23], 0 offen offset:1024// 000000010180: E05C1400 80857022
	v_mfma_f32_16x16x32_fp8_fp8 v[176:179], a[68:69], v[116:117], v[176:179]// 000000010188: D3F300B0 0EC2E944
	v_mfma_f32_16x16x32_fp8_fp8 v[176:179], a[70:71], v[118:119], v[176:179]// 000000010190: D3F300B0 0EC2ED46
	v_mfma_f32_16x16x32_fp8_fp8 v[176:179], a[72:73], v[120:121], v[176:179]// 000000010198: D3F300B0 0EC2F148
	v_mfma_f32_16x16x32_fp8_fp8 v[176:179], a[74:75], v[122:123], v[176:179]// 0000000101A0: D3F300B0 0EC2F54A
	buffer_load_dwordx4 a[116:119], v35, s[20:23], 0 offen offset:1024// 0000000101A8: E05C1400 80857423
	v_mfma_f32_16x16x32_fp8_fp8 v[176:179], a[76:77], v[124:125], v[176:179]// 0000000101B0: D3F300B0 0EC2F94C
	v_mfma_f32_16x16x32_fp8_fp8 v[176:179], a[78:79], v[126:127], v[176:179]// 0000000101B8: D3F300B0 0EC2FD4E
	v_mfma_f32_16x16x32_fp8_fp8 v[180:183], a[80:81], v[112:113], 0// 0000000101C0: D3F300B4 0A02E150
	v_mfma_f32_16x16x32_fp8_fp8 v[180:183], a[82:83], v[114:115], v[180:183]// 0000000101C8: D3F300B4 0ED2E552
	buffer_load_dwordx4 a[120:123], v36, s[20:23], 0 offen offset:1024// 0000000101D0: E05C1400 80857824
	v_mfma_f32_16x16x32_fp8_fp8 v[180:183], a[84:85], v[116:117], v[180:183]// 0000000101D8: D3F300B4 0ED2E954
	v_mfma_f32_16x16x32_fp8_fp8 v[180:183], a[86:87], v[118:119], v[180:183]// 0000000101E0: D3F300B4 0ED2ED56
	v_mfma_f32_16x16x32_fp8_fp8 v[180:183], a[88:89], v[120:121], v[180:183]// 0000000101E8: D3F300B4 0ED2F158
	v_mfma_f32_16x16x32_fp8_fp8 v[180:183], a[90:91], v[122:123], v[180:183]// 0000000101F0: D3F300B4 0ED2F55A
	buffer_load_dwordx4 a[124:127], v37, s[20:23], 0 offen offset:1024// 0000000101F8: E05C1400 80857C25
	v_mfma_f32_16x16x32_fp8_fp8 v[180:183], a[92:93], v[124:125], v[180:183]// 000000010200: D3F300B4 0ED2F95C
	s_lshr_b32 s57, s70, 4                                     // 000000010208: 8F398446
	s_add_u32 s57, 48, s57                                     // 00000001020C: 803939B0
	v_mfma_f32_16x16x32_fp8_fp8 v[180:183], a[94:95], v[126:127], v[180:183]// 000000010210: D3F300B4 0ED2FD5E
	s_cmp_ge_u32 s57, s73                                      // 000000010218: BF094939
	s_cselect_b32 s56, 0, s56                                  // 00000001021C: 85383880
	v_mfma_f32_16x16x32_fp8_fp8 v[184:187], a[64:65], v[128:129], 0// 000000010220: D3F300B8 0A030140
	v_mfma_f32_16x16x32_fp8_fp8 v[184:187], a[66:67], v[130:131], v[184:187]// 000000010228: D3F300B8 0EE30542
	v_mfma_f32_16x16x32_fp8_fp8 v[184:187], a[68:69], v[132:133], v[184:187]// 000000010230: D3F300B8 0EE30944
	v_mfma_f32_16x16x32_fp8_fp8 v[184:187], a[70:71], v[134:135], v[184:187]// 000000010238: D3F300B8 0EE30D46
	v_mfma_f32_16x16x32_fp8_fp8 v[184:187], a[72:73], v[136:137], v[184:187]// 000000010240: D3F300B8 0EE31148
	v_mfma_f32_16x16x32_fp8_fp8 v[184:187], a[74:75], v[138:139], v[184:187]// 000000010248: D3F300B8 0EE3154A
	v_mfma_f32_16x16x32_fp8_fp8 v[184:187], a[76:77], v[140:141], v[184:187]// 000000010250: D3F300B8 0EE3194C
	v_mfma_f32_16x16x32_fp8_fp8 v[184:187], a[78:79], v[142:143], v[184:187]// 000000010258: D3F300B8 0EE31D4E
	v_mfma_f32_16x16x32_fp8_fp8 v[188:191], a[80:81], v[128:129], 0// 000000010260: D3F300BC 0A030150
	v_mfma_f32_16x16x32_fp8_fp8 v[188:191], a[82:83], v[130:131], v[188:191]// 000000010268: D3F300BC 0EF30552
	v_mfma_f32_16x16x32_fp8_fp8 v[188:191], a[84:85], v[132:133], v[188:191]// 000000010270: D3F300BC 0EF30954
	v_mfma_f32_16x16x32_fp8_fp8 v[188:191], a[86:87], v[134:135], v[188:191]// 000000010278: D3F300BC 0EF30D56
	v_mfma_f32_16x16x32_fp8_fp8 v[188:191], a[88:89], v[136:137], v[188:191]// 000000010280: D3F300BC 0EF31158
	v_mfma_f32_16x16x32_fp8_fp8 v[188:191], a[90:91], v[138:139], v[188:191]// 000000010288: D3F300BC 0EF3155A
	v_mfma_f32_16x16x32_fp8_fp8 v[188:191], a[92:93], v[140:141], v[188:191]// 000000010290: D3F300BC 0EF3195C
	v_mfma_f32_16x16x32_fp8_fp8 v[188:191], a[94:95], v[142:143], v[188:191]// 000000010298: D3F300BC 0EF31D5E
	v_mfma_f32_16x16x32_fp8_fp8 v[192:195], a[64:65], v[144:145], 0// 0000000102A0: D3F300C0 0A032140
	v_mfma_f32_16x16x32_fp8_fp8 v[192:195], a[66:67], v[146:147], v[192:195]// 0000000102A8: D3F300C0 0F032542
	v_mfma_f32_16x16x32_fp8_fp8 v[192:195], a[68:69], v[148:149], v[192:195]// 0000000102B0: D3F300C0 0F032944
	v_mfma_f32_16x16x32_fp8_fp8 v[192:195], a[70:71], v[150:151], v[192:195]// 0000000102B8: D3F300C0 0F032D46
	v_mfma_f32_16x16x32_fp8_fp8 v[192:195], a[72:73], v[152:153], v[192:195]// 0000000102C0: D3F300C0 0F033148
	v_mfma_f32_16x16x32_fp8_fp8 v[192:195], a[74:75], v[154:155], v[192:195]// 0000000102C8: D3F300C0 0F03354A
	v_mfma_f32_16x16x32_fp8_fp8 v[192:195], a[76:77], v[156:157], v[192:195]// 0000000102D0: D3F300C0 0F03394C
	v_mfma_f32_16x16x32_fp8_fp8 v[192:195], a[78:79], v[158:159], v[192:195]// 0000000102D8: D3F300C0 0F033D4E
	v_mfma_f32_16x16x32_fp8_fp8 v[196:199], a[80:81], v[144:145], 0// 0000000102E0: D3F300C4 0A032150
	v_mfma_f32_16x16x32_fp8_fp8 v[196:199], a[82:83], v[146:147], v[196:199]// 0000000102E8: D3F300C4 0F132552
	v_mfma_f32_16x16x32_fp8_fp8 v[196:199], a[84:85], v[148:149], v[196:199]// 0000000102F0: D3F300C4 0F132954
	v_mfma_f32_16x16x32_fp8_fp8 v[196:199], a[86:87], v[150:151], v[196:199]// 0000000102F8: D3F300C4 0F132D56
	v_mfma_f32_16x16x32_fp8_fp8 v[196:199], a[88:89], v[152:153], v[196:199]// 000000010300: D3F300C4 0F133158
	v_mfma_f32_16x16x32_fp8_fp8 v[196:199], a[90:91], v[154:155], v[196:199]// 000000010308: D3F300C4 0F13355A
	v_mfma_f32_16x16x32_fp8_fp8 v[196:199], a[92:93], v[156:157], v[196:199]// 000000010310: D3F300C4 0F13395C
	v_mfma_f32_16x16x32_fp8_fp8 v[196:199], a[94:95], v[158:159], v[196:199]// 000000010318: D3F300C4 0F133D5E
	v_add_u32_e32 v1, s56, v1                                  // 000000010320: 68020238
	s_addk_i32 s70, 0x100                                      // 000000010324: B7460100
	s_cmp_lt_i32 s70, s71                                      // 000000010328: BF044746
	s_cbranch_scc0 label_3E83                                  // 00000001032C: BF840637
	s_waitcnt vmcnt(8) lgkmcnt(0)                              // 000000010330: BF8C0078
	v_mul_u32_u24_dpp v64, v16, v54 row_newbcast:0 row_mask:0xf bank_mask:0xf// 000000010334: 10806CFA FF015010
	v_mul_u32_u24_dpp v65, v16, v54 row_newbcast:4 row_mask:0xf bank_mask:0xf// 00000001033C: 10826CFA FF015410
	v_mul_u32_u24_dpp v66, v16, v54 row_newbcast:8 row_mask:0xf bank_mask:0xf// 000000010344: 10846CFA FF015810
	v_mul_u32_u24_dpp v67, v16, v54 row_newbcast:12 row_mask:0xf bank_mask:0xf// 00000001034C: 10866CFA FF015C10
	v_add_u32_e32 v22, v64, v5                                 // 000000010354: 682C0B40
	v_add_u32_e32 v23, v65, v5                                 // 000000010358: 682E0B41
	v_add_u32_e32 v24, v66, v5                                 // 00000001035C: 68300B42
	v_add_u32_e32 v25, v67, v5                                 // 000000010360: 68320B43
	v_mul_u32_u24_dpp v64, v16, v63 quad_perm:[0,0,0,0] row_mask:0xf bank_mask:0xf// 000000010364: 10807EFA FF000010
	v_add_u32_e32 v2, v64, v59                                 // 00000001036C: 68047740
	v_mul_u32_u24_dpp v64, v16, v63 quad_perm:[0,0,0,0] row_mask:0xf bank_mask:0xf// 000000010370: 10807EFA FF000010
	v_add_u32_e32 v55, v64, v60                                // 000000010378: 686E7940
	v_mfma_f32_16x16x32_fp8_fp8 v[112:115], a[32:33], v[80:81], 0// 00000001037C: D3F30070 0A02A120
	v_mfma_f32_16x16x32_fp8_fp8 v[112:115], a[34:35], v[82:83], v[112:115]// 000000010384: D3F30070 0DC2A522
	buffer_load_dwordx4 a[0:3], v22, s[16:19], 0 offen         // 00000001038C: E05C1000 80840016
	v_mfma_f32_16x16x32_fp8_fp8 v[112:115], a[36:37], v[84:85], v[112:115]// 000000010394: D3F30070 0DC2A924
	v_mfma_f32_16x16x32_fp8_fp8 v[112:115], a[38:39], v[86:87], v[112:115]// 00000001039C: D3F30070 0DC2AD26
	buffer_load_dword v17, v1, s[24:27], 0 offen               // 0000000103A4: E0501000 80061101
	v_mfma_f32_16x16x32_fp8_fp8 v[116:119], a[40:41], v[80:81], 0// 0000000103AC: D3F30074 0A02A128
	v_mfma_f32_16x16x32_fp8_fp8 v[116:119], a[42:43], v[82:83], v[116:119]// 0000000103B4: D3F30074 0DD2A52A
	buffer_load_dwordx4 a[4:7], v22, s[16:19], 0 offen offset:1024// 0000000103BC: E05C1400 80840416
	v_mfma_f32_16x16x32_fp8_fp8 v[116:119], a[44:45], v[84:85], v[116:119]// 0000000103C4: D3F30074 0DD2A92C
	v_mfma_f32_16x16x32_fp8_fp8 v[116:119], a[46:47], v[86:87], v[116:119]// 0000000103CC: D3F30074 0DD2AD2E
	v_mfma_f32_16x16x32_fp8_fp8 v[120:123], a[48:49], v[80:81], 0// 0000000103D4: D3F30078 0A02A130
	v_mfma_f32_16x16x32_fp8_fp8 v[120:123], a[50:51], v[82:83], v[120:123]// 0000000103DC: D3F30078 0DE2A532
	buffer_load_dwordx4 a[8:11], v23, s[16:19], 0 offen        // 0000000103E4: E05C1000 80840817
	v_mfma_f32_16x16x32_fp8_fp8 v[120:123], a[52:53], v[84:85], v[120:123]// 0000000103EC: D3F30078 0DE2A934
	v_mfma_f32_16x16x32_fp8_fp8 v[120:123], a[54:55], v[86:87], v[120:123]// 0000000103F4: D3F30078 0DE2AD36
	v_mfma_f32_16x16x32_fp8_fp8 v[124:127], a[56:57], v[80:81], 0// 0000000103FC: D3F3007C 0A02A138
	v_mfma_f32_16x16x32_fp8_fp8 v[124:127], a[58:59], v[82:83], v[124:127]// 000000010404: D3F3007C 0DF2A53A
	buffer_load_dwordx4 a[12:15], v23, s[16:19], 0 offen offset:1024// 00000001040C: E05C1400 80840C17
	v_mfma_f32_16x16x32_fp8_fp8 v[124:127], a[60:61], v[84:85], v[124:127]// 000000010414: D3F3007C 0DF2A93C
	v_mfma_f32_16x16x32_fp8_fp8 v[124:127], a[62:63], v[86:87], v[124:127]// 00000001041C: D3F3007C 0DF2AD3E
	v_mfma_f32_16x16x32_fp8_fp8 v[128:131], a[32:33], v[88:89], 0// 000000010424: D3F30080 0A02B120
	v_mfma_f32_16x16x32_fp8_fp8 v[128:131], a[34:35], v[90:91], v[128:131]// 00000001042C: D3F30080 0E02B522
	v_mfma_f32_16x16x32_fp8_fp8 v[128:131], a[36:37], v[92:93], v[128:131]// 000000010434: D3F30080 0E02B924
	v_mfma_f32_16x16x32_fp8_fp8 v[128:131], a[38:39], v[94:95], v[128:131]// 00000001043C: D3F30080 0E02BD26
	v_mfma_f32_16x16x32_fp8_fp8 v[132:135], a[40:41], v[88:89], 0// 000000010444: D3F30084 0A02B128
	v_mfma_f32_16x16x32_fp8_fp8 v[132:135], a[42:43], v[90:91], v[132:135]// 00000001044C: D3F30084 0E12B52A
	v_mfma_f32_16x16x32_fp8_fp8 v[132:135], a[44:45], v[92:93], v[132:135]// 000000010454: D3F30084 0E12B92C
	v_mfma_f32_16x16x32_fp8_fp8 v[132:135], a[46:47], v[94:95], v[132:135]// 00000001045C: D3F30084 0E12BD2E
	v_mfma_f32_16x16x32_fp8_fp8 v[136:139], a[48:49], v[88:89], 0// 000000010464: D3F30088 0A02B130
	v_mfma_f32_16x16x32_fp8_fp8 v[136:139], a[50:51], v[90:91], v[136:139]// 00000001046C: D3F30088 0E22B532
	v_mfma_f32_16x16x32_fp8_fp8 v[136:139], a[52:53], v[92:93], v[136:139]// 000000010474: D3F30088 0E22B934
	v_mfma_f32_16x16x32_fp8_fp8 v[136:139], a[54:55], v[94:95], v[136:139]// 00000001047C: D3F30088 0E22BD36
	v_mfma_f32_16x16x32_fp8_fp8 v[140:143], a[56:57], v[88:89], 0// 000000010484: D3F3008C 0A02B138
	v_mfma_f32_16x16x32_fp8_fp8 v[140:143], a[58:59], v[90:91], v[140:143]// 00000001048C: D3F3008C 0E32B53A
	v_mfma_f32_16x16x32_fp8_fp8 v[140:143], a[60:61], v[92:93], v[140:143]// 000000010494: D3F3008C 0E32B93C
	v_mfma_f32_16x16x32_fp8_fp8 v[140:143], a[62:63], v[94:95], v[140:143]// 00000001049C: D3F3008C 0E32BD3E
	v_mfma_f32_16x16x32_fp8_fp8 v[144:147], a[32:33], v[96:97], 0// 0000000104A4: D3F30090 0A02C120
	v_mfma_f32_16x16x32_fp8_fp8 v[144:147], a[34:35], v[98:99], v[144:147]// 0000000104AC: D3F30090 0E42C522
	v_mfma_f32_16x16x32_fp8_fp8 v[144:147], a[36:37], v[100:101], v[144:147]// 0000000104B4: D3F30090 0E42C924
	v_mfma_f32_16x16x32_fp8_fp8 v[144:147], a[38:39], v[102:103], v[144:147]// 0000000104BC: D3F30090 0E42CD26
	v_mfma_f32_16x16x32_fp8_fp8 v[148:151], a[40:41], v[96:97], 0// 0000000104C4: D3F30094 0A02C128
	v_mfma_f32_16x16x32_fp8_fp8 v[148:151], a[42:43], v[98:99], v[148:151]// 0000000104CC: D3F30094 0E52C52A
	v_mfma_f32_16x16x32_fp8_fp8 v[148:151], a[44:45], v[100:101], v[148:151]// 0000000104D4: D3F30094 0E52C92C
	v_mfma_f32_16x16x32_fp8_fp8 v[148:151], a[46:47], v[102:103], v[148:151]// 0000000104DC: D3F30094 0E52CD2E
	v_mfma_f32_16x16x32_fp8_fp8 v[152:155], a[48:49], v[96:97], 0// 0000000104E4: D3F30098 0A02C130
	v_mfma_f32_16x16x32_fp8_fp8 v[152:155], a[50:51], v[98:99], v[152:155]// 0000000104EC: D3F30098 0E62C532
	v_mfma_f32_16x16x32_fp8_fp8 v[152:155], a[52:53], v[100:101], v[152:155]// 0000000104F4: D3F30098 0E62C934
	v_mfma_f32_16x16x32_fp8_fp8 v[152:155], a[54:55], v[102:103], v[152:155]// 0000000104FC: D3F30098 0E62CD36
	v_mfma_f32_16x16x32_fp8_fp8 v[156:159], a[56:57], v[96:97], 0// 000000010504: D3F3009C 0A02C138
	v_mfma_f32_16x16x32_fp8_fp8 v[156:159], a[58:59], v[98:99], v[156:159]// 00000001050C: D3F3009C 0E72C53A
	v_mfma_f32_16x16x32_fp8_fp8 v[156:159], a[60:61], v[100:101], v[156:159]// 000000010514: D3F3009C 0E72C93C
	v_mfma_f32_16x16x32_fp8_fp8 v[156:159], a[62:63], v[102:103], v[156:159]// 00000001051C: D3F3009C 0E72CD3E
	buffer_load_dword v42, v2, s[32:35], 0 offen               // 000000010524: E0501000 80082A02
	v_mov_b32_dpp v64, v43 row_shr:4 row_mask:0xf bank_mask:0xf// 00000001052C: 7E8002FA FF01142B
	v_mov_b32_dpp v65, v43 row_shl:4 row_mask:0xf bank_mask:0xf// 000000010534: 7E8202FA FF01042B
	v_cndmask_b32_e64 v248, v43, v64, s[44:45]                 // 00000001053C: D10000F8 00B2812B
	v_cndmask_b32_e64 v249, v65, v43, s[44:45]                 // 000000010544: D10000F9 00B25741
	v_mov_b32_dpp v64, v248 row_shr:8 row_mask:0xf bank_mask:0xf// 00000001054C: 7E8002FA FF0118F8
	v_mov_b32_dpp v65, v248 row_shl:8 row_mask:0xf bank_mask:0xf// 000000010554: 7E8202FA FF0108F8
	v_mov_b32_dpp v66, v249 row_shr:8 row_mask:0xf bank_mask:0xf// 00000001055C: 7E8402FA FF0118F9
	v_mov_b32_dpp v67, v249 row_shl:8 row_mask:0xf bank_mask:0xf// 000000010564: 7E8602FA FF0108F9
	v_mov_b32_e32 v68, v248                                    // 00000001056C: 7E8803F8
	v_mov_b32_e32 v69, v249                                    // 000000010570: 7E8A03F9
	v_cndmask_b32_e64 v248, v68, v64, s[42:43]                 // 000000010574: D10000F8 00AA8144
	v_cndmask_b32_e64 v250, v68, v65, s[78:79]                 // 00000001057C: D10000FA 013A8344
	v_cndmask_b32_e64 v249, v69, v66, s[42:43]                 // 000000010584: D10000F9 00AA8545
	v_cndmask_b32_e64 v251, v69, v67, s[78:79]                 // 00000001058C: D10000FB 013A8745
	v_mov_b32_dpp v64, v58 row_shr:4 row_mask:0xf bank_mask:0xf// 000000010594: 7E8002FA FF01143A
	v_mov_b32_dpp v65, v58 row_shl:4 row_mask:0xf bank_mask:0xf// 00000001059C: 7E8202FA FF01043A
	v_cndmask_b32_e64 v252, v58, v64, s[44:45]                 // 0000000105A4: D10000FC 00B2813A
	v_cndmask_b32_e64 v253, v65, v58, s[44:45]                 // 0000000105AC: D10000FD 00B27541
	v_mov_b32_dpp v64, v252 row_shr:8 row_mask:0xf bank_mask:0xf// 0000000105B4: 7E8002FA FF0118FC
	v_mov_b32_dpp v65, v252 row_shl:8 row_mask:0xf bank_mask:0xf// 0000000105BC: 7E8202FA FF0108FC
	v_mov_b32_dpp v66, v253 row_shr:8 row_mask:0xf bank_mask:0xf// 0000000105C4: 7E8402FA FF0118FD
	v_mov_b32_dpp v67, v253 row_shl:8 row_mask:0xf bank_mask:0xf// 0000000105CC: 7E8602FA FF0108FD
	v_mov_b32_e32 v68, v252                                    // 0000000105D4: 7E8803FC
	v_mov_b32_e32 v69, v253                                    // 0000000105D8: 7E8A03FD
	v_cndmask_b32_e64 v252, v68, v64, s[42:43]                 // 0000000105DC: D10000FC 00AA8144
	v_cndmask_b32_e64 v254, v68, v65, s[78:79]                 // 0000000105E4: D10000FE 013A8344
	v_cndmask_b32_e64 v253, v69, v66, s[42:43]                 // 0000000105EC: D10000FD 00AA8545
	v_cndmask_b32_e64 v255, v69, v67, s[78:79]                 // 0000000105F4: D10000FF 013A8745
	buffer_load_dword v57, v55, s[36:39], 0 offen              // 0000000105FC: E0501000 80093937
	v_mul_f32_e32 v112, v18, v112                              // 000000010604: 0AE0E112
	v_mul_f32_e32 v113, v18, v113                              // 000000010608: 0AE2E312
	v_mul_f32_e32 v114, v18, v114                              // 00000001060C: 0AE4E512
	v_mul_f32_e32 v115, v18, v115                              // 000000010610: 0AE6E712
	v_mul_f32_e32 v116, v18, v116                              // 000000010614: 0AE8E912
	v_mul_f32_e32 v117, v18, v117                              // 000000010618: 0AEAEB12
	v_mul_f32_e32 v118, v18, v118                              // 00000001061C: 0AECED12
	v_mul_f32_e32 v119, v18, v119                              // 000000010620: 0AEEEF12
	v_mul_f32_e32 v120, v18, v120                              // 000000010624: 0AF0F112
	v_mul_f32_e32 v121, v18, v121                              // 000000010628: 0AF2F312
	v_mul_f32_e32 v122, v18, v122                              // 00000001062C: 0AF4F512
	v_mul_f32_e32 v123, v18, v123                              // 000000010630: 0AF6F712
	v_mul_f32_e32 v124, v18, v124                              // 000000010634: 0AF8F912
	v_mul_f32_e32 v125, v18, v125                              // 000000010638: 0AFAFB12
	v_mul_f32_e32 v126, v18, v126                              // 00000001063C: 0AFCFD12
	v_mul_f32_e32 v127, v18, v127                              // 000000010640: 0AFEFF12
	buffer_load_dwordx4 a[16:19], v24, s[16:19], 0 offen       // 000000010644: E05C1000 80841018
	v_mul_f32_dpp v112, v248, v112 quad_perm:[0,0,0,0] row_mask:0xf bank_mask:0xf// 00000001064C: 0AE0E0FA FF0000F8
	v_mul_f32_dpp v113, v248, v113 quad_perm:[1,1,1,1] row_mask:0xf bank_mask:0xf// 000000010654: 0AE2E2FA FF0055F8
	v_mul_f32_dpp v114, v248, v114 quad_perm:[2,2,2,2] row_mask:0xf bank_mask:0xf// 00000001065C: 0AE4E4FA FF00AAF8
	v_mul_f32_dpp v115, v248, v115 quad_perm:[3,3,3,3] row_mask:0xf bank_mask:0xf// 000000010664: 0AE6E6FA FF00FFF8
	v_mul_f32_dpp v116, v249, v116 quad_perm:[0,0,0,0] row_mask:0xf bank_mask:0xf// 00000001066C: 0AE8E8FA FF0000F9
	v_mul_f32_dpp v117, v249, v117 quad_perm:[1,1,1,1] row_mask:0xf bank_mask:0xf// 000000010674: 0AEAEAFA FF0055F9
	v_mul_f32_dpp v118, v249, v118 quad_perm:[2,2,2,2] row_mask:0xf bank_mask:0xf// 00000001067C: 0AECECFA FF00AAF9
	v_mul_f32_dpp v119, v249, v119 quad_perm:[3,3,3,3] row_mask:0xf bank_mask:0xf// 000000010684: 0AEEEEFA FF00FFF9
	v_mul_f32_dpp v120, v250, v120 quad_perm:[0,0,0,0] row_mask:0xf bank_mask:0xf// 00000001068C: 0AF0F0FA FF0000FA
	v_mul_f32_dpp v121, v250, v121 quad_perm:[1,1,1,1] row_mask:0xf bank_mask:0xf// 000000010694: 0AF2F2FA FF0055FA
	v_mul_f32_dpp v122, v250, v122 quad_perm:[2,2,2,2] row_mask:0xf bank_mask:0xf// 00000001069C: 0AF4F4FA FF00AAFA
	v_mul_f32_dpp v123, v250, v123 quad_perm:[3,3,3,3] row_mask:0xf bank_mask:0xf// 0000000106A4: 0AF6F6FA FF00FFFA
	v_mul_f32_dpp v124, v251, v124 quad_perm:[0,0,0,0] row_mask:0xf bank_mask:0xf// 0000000106AC: 0AF8F8FA FF0000FB
	v_mul_f32_dpp v125, v251, v125 quad_perm:[1,1,1,1] row_mask:0xf bank_mask:0xf// 0000000106B4: 0AFAFAFA FF0055FB
	v_mul_f32_dpp v126, v251, v126 quad_perm:[2,2,2,2] row_mask:0xf bank_mask:0xf// 0000000106BC: 0AFCFCFA FF00AAFB
	v_mul_f32_dpp v127, v251, v127 quad_perm:[3,3,3,3] row_mask:0xf bank_mask:0xf// 0000000106C4: 0AFEFEFA FF00FFFB
	buffer_load_dwordx4 a[20:23], v24, s[16:19], 0 offen offset:1024// 0000000106CC: E05C1400 80841418
	v_mov_b32_e32 v48, v112                                    // 0000000106D4: 7E600370
	v_max3_f32 v48, v112, v113, v48                            // 0000000106D8: D1D30030 04C2E370
	v_max3_f32 v48, v114, v115, v48                            // 0000000106E0: D1D30030 04C2E772
	v_max3_f32 v48, v116, v117, v48                            // 0000000106E8: D1D30030 04C2EB74
	v_max3_f32 v48, v118, v119, v48                            // 0000000106F0: D1D30030 04C2EF76
	v_max3_f32 v48, v120, v121, v48                            // 0000000106F8: D1D30030 04C2F378
	v_max3_f32 v48, v122, v123, v48                            // 000000010700: D1D30030 04C2F77A
	v_max3_f32 v48, v124, v125, v48                            // 000000010708: D1D30030 04C2FB7C
	v_max3_f32 v48, v126, v127, v48                            // 000000010710: D1D30030 04C2FF7E
	ds_write_b32 v8, v48 offset:16896                          // 000000010718: D81A4200 00003008
	buffer_load_dwordx4 a[24:27], v25, s[16:19], 0 offen       // 000000010720: E05C1000 80841819
	v_mul_u32_u24_dpp v64, v16, v54 row_newbcast:1 row_mask:0xf bank_mask:0xf// 000000010728: 10806CFA FF015110
	v_mul_u32_u24_dpp v65, v16, v54 row_newbcast:5 row_mask:0xf bank_mask:0xf// 000000010730: 10826CFA FF015510
	v_mul_u32_u24_dpp v66, v16, v54 row_newbcast:9 row_mask:0xf bank_mask:0xf// 000000010738: 10846CFA FF015910
	v_mul_u32_u24_dpp v67, v16, v54 row_newbcast:13 row_mask:0xf bank_mask:0xf// 000000010740: 10866CFA FF015D10
	v_add_u32_e32 v30, v64, v6                                 // 000000010748: 683C0D40
	v_add_u32_e32 v31, v65, v6                                 // 00000001074C: 683E0D41
	v_add_u32_e32 v32, v66, v6                                 // 000000010750: 68400D42
	v_add_u32_e32 v33, v67, v6                                 // 000000010754: 68420D43
	v_mul_f32_e32 v208, v49, v208                              // 000000010758: 0BA1A131
	v_mul_f32_e32 v209, v49, v209                              // 00000001075C: 0BA3A331
	v_mul_f32_e32 v210, v49, v210                              // 000000010760: 0BA5A531
	v_mul_f32_e32 v211, v49, v211                              // 000000010764: 0BA7A731
	v_mul_f32_e32 v212, v49, v212                              // 000000010768: 0BA9A931
	v_mul_f32_e32 v213, v49, v213                              // 00000001076C: 0BABAB31
	v_mul_f32_e32 v214, v49, v214                              // 000000010770: 0BADAD31
	v_mul_f32_e32 v215, v49, v215                              // 000000010774: 0BAFAF31
	s_waitcnt lgkmcnt(0)                                       // 000000010778: BF8CC07F
	s_barrier                                                  // 00000001077C: BF8A0000
	ds_read_b32 v64, v7 offset:16896                           // 000000010780: D86C4200 40000007
	ds_read_b32 v65, v7 offset:16960                           // 000000010788: D86C4240 41000007
	ds_read_b32 v66, v7 offset:17024                           // 000000010790: D86C4280 42000007
	ds_read_b32 v67, v7 offset:17088                           // 000000010798: D86C42C0 43000007
	ds_read_b32 v68, v7 offset:17152                           // 0000000107A0: D86C4300 44000007
	ds_read_b32 v69, v7 offset:17216                           // 0000000107A8: D86C4340 45000007
	ds_read_b32 v70, v7 offset:17280                           // 0000000107B0: D86C4380 46000007
	ds_read_b32 v71, v7 offset:17344                           // 0000000107B8: D86C43C0 47000007
	ds_read_b32 v72, v7 offset:17408                           // 0000000107C0: D86C4400 48000007
	ds_read_b32 v73, v7 offset:17472                           // 0000000107C8: D86C4440 49000007
	ds_read_b32 v74, v7 offset:17536                           // 0000000107D0: D86C4480 4A000007
	ds_read_b32 v75, v7 offset:17600                           // 0000000107D8: D86C44C0 4B000007
	ds_read_b32 v76, v7 offset:17664                           // 0000000107E0: D86C4500 4C000007
	ds_read_b32 v77, v7 offset:17728                           // 0000000107E8: D86C4540 4D000007
	ds_read_b32 v78, v7 offset:17792                           // 0000000107F0: D86C4580 4E000007
	ds_read_b32 v79, v7 offset:17856                           // 0000000107F8: D86C45C0 4F000007
	buffer_load_dwordx4 a[28:31], v25, s[16:19], 0 offen offset:1024// 000000010800: E05C1400 80841C19
	v_mul_f32_e32 v176, v44, v176                              // 000000010808: 0B61612C
	v_mul_f32_e32 v177, v44, v177                              // 00000001080C: 0B63632C
	v_mul_f32_e32 v178, v44, v178                              // 000000010810: 0B65652C
	v_mul_f32_e32 v179, v44, v179                              // 000000010814: 0B67672C
	v_mul_f32_e32 v180, v44, v180                              // 000000010818: 0B69692C
	v_mul_f32_e32 v181, v44, v181                              // 00000001081C: 0B6B6B2C
	v_mul_f32_e32 v182, v44, v182                              // 000000010820: 0B6D6D2C
	v_mul_f32_e32 v183, v44, v183                              // 000000010824: 0B6F6F2C
	s_waitcnt lgkmcnt(0)                                       // 000000010828: BF8CC07F
	v_max3_f32 v48, v64, v65, v48                              // 00000001082C: D1D30030 04C28340
	v_max3_f32 v48, v66, v67, v48                              // 000000010834: D1D30030 04C28742
	v_max3_f32 v48, v68, v69, v48                              // 00000001083C: D1D30030 04C28B44
	v_max3_f32 v48, v70, v71, v48                              // 000000010844: D1D30030 04C28F46
	v_max3_f32 v48, v72, v73, v48                              // 00000001084C: D1D30030 04C29348
	v_max3_f32 v48, v74, v75, v48                              // 000000010854: D1D30030 04C2974A
	v_max3_f32 v48, v76, v77, v48                              // 00000001085C: D1D30030 04C29B4C
	v_max3_f32 v48, v78, v79, v48                              // 000000010864: D1D30030 04C29F4E
	buffer_load_dwordx4 a[64:67], v30, s[20:23], 0 offen       // 00000001086C: E05C1000 8085401E
	v_mov_b32_e32 v64, 0xff800000                              // 000000010874: 7E8002FF FF800000
	v_cmp_eq_u32_e64 s[40:41], v64, v11                        // 00000001087C: D0CA0028 00021740
	s_nop 1                                                    // 000000010884: BF800001
	v_max_f32_e32 v15, v48, v11                                // 000000010888: 161E1730
	v_mul_f32_e32 v53, s64, v15                                // 00000001088C: 0A6A1E40
	v_fma_f32 v112, v112, s64, -v53                            // 000000010890: D1CB0070 84D48170
	v_fma_f32 v113, v113, s64, -v53                            // 000000010898: D1CB0071 84D48171
	v_fma_f32 v114, v114, s64, -v53                            // 0000000108A0: D1CB0072 84D48172
	v_fma_f32 v115, v115, s64, -v53                            // 0000000108A8: D1CB0073 84D48173
	v_fma_f32 v116, v116, s64, -v53                            // 0000000108B0: D1CB0074 84D48174
	v_fma_f32 v117, v117, s64, -v53                            // 0000000108B8: D1CB0075 84D48175
	v_fma_f32 v118, v118, s64, -v53                            // 0000000108C0: D1CB0076 84D48176
	v_fma_f32 v119, v119, s64, -v53                            // 0000000108C8: D1CB0077 84D48177
	v_fma_f32 v120, v120, s64, -v53                            // 0000000108D0: D1CB0078 84D48178
	v_fma_f32 v121, v121, s64, -v53                            // 0000000108D8: D1CB0079 84D48179
	v_fma_f32 v122, v122, s64, -v53                            // 0000000108E0: D1CB007A 84D4817A
	v_fma_f32 v123, v123, s64, -v53                            // 0000000108E8: D1CB007B 84D4817B
	v_fma_f32 v124, v124, s64, -v53                            // 0000000108F0: D1CB007C 84D4817C
	v_fma_f32 v125, v125, s64, -v53                            // 0000000108F8: D1CB007D 84D4817D
	v_fma_f32 v126, v126, s64, -v53                            // 000000010900: D1CB007E 84D4817E
	v_fma_f32 v127, v127, s64, -v53                            // 000000010908: D1CB007F 84D4817F
	buffer_load_dwordx4 a[68:71], v31, s[20:23], 0 offen       // 000000010910: E05C1000 8085441F
	v_exp_f32_e32 v112, v112                                   // 000000010918: 7EE04170
	v_exp_f32_e32 v113, v113                                   // 00000001091C: 7EE24171
	v_exp_f32_e32 v114, v114                                   // 000000010920: 7EE44172
	v_exp_f32_e32 v115, v115                                   // 000000010924: 7EE64173
	v_exp_f32_e32 v116, v116                                   // 000000010928: 7EE84174
	v_exp_f32_e32 v117, v117                                   // 00000001092C: 7EEA4175
	v_exp_f32_e32 v118, v118                                   // 000000010930: 7EEC4176
	v_exp_f32_e32 v119, v119                                   // 000000010934: 7EEE4177
	v_exp_f32_e32 v120, v120                                   // 000000010938: 7EF04178
	v_exp_f32_e32 v121, v121                                   // 00000001093C: 7EF24179
	v_exp_f32_e32 v122, v122                                   // 000000010940: 7EF4417A
	v_exp_f32_e32 v123, v123                                   // 000000010944: 7EF6417B
	v_exp_f32_e32 v124, v124                                   // 000000010948: 7EF8417C
	v_exp_f32_e32 v125, v125                                   // 00000001094C: 7EFA417D
	v_exp_f32_e32 v126, v126                                   // 000000010950: 7EFC417E
	v_exp_f32_e32 v127, v127                                   // 000000010954: 7EFE417F
	buffer_load_dwordx4 a[72:75], v32, s[20:23], 0 offen       // 000000010958: E05C1000 80854820
	v_mul_f32_dpp v240, v252, v112 quad_perm:[0,0,0,0] row_mask:0xf bank_mask:0xf// 000000010960: 0BE0E0FA FF0000FC
	v_mul_f32_dpp v241, v252, v113 quad_perm:[1,1,1,1] row_mask:0xf bank_mask:0xf// 000000010968: 0BE2E2FA FF0055FC
	v_mul_f32_dpp v242, v252, v114 quad_perm:[2,2,2,2] row_mask:0xf bank_mask:0xf// 000000010970: 0BE4E4FA FF00AAFC
	v_mul_f32_dpp v243, v252, v115 quad_perm:[3,3,3,3] row_mask:0xf bank_mask:0xf// 000000010978: 0BE6E6FA FF00FFFC
	v_mul_f32_dpp v244, v253, v116 quad_perm:[0,0,0,0] row_mask:0xf bank_mask:0xf// 000000010980: 0BE8E8FA FF0000FD
	v_mul_f32_dpp v245, v253, v117 quad_perm:[1,1,1,1] row_mask:0xf bank_mask:0xf// 000000010988: 0BEAEAFA FF0055FD
	v_mul_f32_dpp v246, v253, v118 quad_perm:[2,2,2,2] row_mask:0xf bank_mask:0xf// 000000010990: 0BECECFA FF00AAFD
	v_mul_f32_dpp v247, v253, v119 quad_perm:[3,3,3,3] row_mask:0xf bank_mask:0xf// 000000010998: 0BEEEEFA FF00FFFD
	v_mul_f32_dpp v248, v254, v120 quad_perm:[0,0,0,0] row_mask:0xf bank_mask:0xf// 0000000109A0: 0BF0F0FA FF0000FE
	v_mul_f32_dpp v249, v254, v121 quad_perm:[1,1,1,1] row_mask:0xf bank_mask:0xf// 0000000109A8: 0BF2F2FA FF0055FE
	v_mul_f32_dpp v250, v254, v122 quad_perm:[2,2,2,2] row_mask:0xf bank_mask:0xf// 0000000109B0: 0BF4F4FA FF00AAFE
	v_mul_f32_dpp v251, v254, v123 quad_perm:[3,3,3,3] row_mask:0xf bank_mask:0xf// 0000000109B8: 0BF6F6FA FF00FFFE
	v_mul_f32_dpp v252, v255, v124 quad_perm:[0,0,0,0] row_mask:0xf bank_mask:0xf// 0000000109C0: 0BF8F8FA FF0000FF
	v_mul_f32_dpp v253, v255, v125 quad_perm:[1,1,1,1] row_mask:0xf bank_mask:0xf// 0000000109C8: 0BFAFAFA FF0055FF
	v_mul_f32_dpp v254, v255, v126 quad_perm:[2,2,2,2] row_mask:0xf bank_mask:0xf// 0000000109D0: 0BFCFCFA FF00AAFF
	v_mul_f32_dpp v255, v255, v127 quad_perm:[3,3,3,3] row_mask:0xf bank_mask:0xf// 0000000109D8: 0BFEFEFA FF00FFFF
	v_mov_b32_e32 v48, 0x358637bd                              // 0000000109E0: 7E6002FF 358637BD
	v_max3_f32 v48, |v240|, |v241|, v48                        // 0000000109E8: D1D30330 04C3E3F0
	v_max3_f32 v48, |v242|, |v243|, v48                        // 0000000109F0: D1D30330 04C3E7F2
	v_max3_f32 v48, |v244|, |v245|, v48                        // 0000000109F8: D1D30330 04C3EBF4
	v_max3_f32 v48, |v246|, |v247|, v48                        // 000000010A00: D1D30330 04C3EFF6
	v_max3_f32 v48, |v248|, |v249|, v48                        // 000000010A08: D1D30330 04C3F3F8
	v_max3_f32 v48, |v250|, |v251|, v48                        // 000000010A10: D1D30330 04C3F7FA
	v_max3_f32 v48, |v252|, |v253|, v48                        // 000000010A18: D1D30330 04C3FBFC
	v_max3_f32 v48, |v254|, |v255|, v48                        // 000000010A20: D1D30330 04C3FFFE
	buffer_load_dwordx4 a[76:79], v33, s[20:23], 0 offen       // 000000010A28: E05C1000 80854C21
	ds_write_b32 v8, v48 offset:20992                          // 000000010A30: D81A5200 00003008
	v_sub_f32_e32 v49, v11, v15                                // 000000010A38: 04621F0B
	v_cndmask_b32_e64 v49, v49, 0, s[40:41]                    // 000000010A3C: D1000031 00A10131
	v_mov_b32_e32 v11, v15                                     // 000000010A44: 7E16030F
	v_mul_f32_e32 v49, s64, v49                                // 000000010A48: 0A626240
	v_exp_f32_e32 v49, v49                                     // 000000010A4C: 7E624131
	s_waitcnt lgkmcnt(0)                                       // 000000010A50: BF8CC07F
	s_barrier                                                  // 000000010A54: BF8A0000
	ds_read_b32 v64, v7 offset:20992                           // 000000010A58: D86C5200 40000007
	ds_read_b32 v65, v7 offset:21056                           // 000000010A60: D86C5240 41000007
	ds_read_b32 v66, v7 offset:21120                           // 000000010A68: D86C5280 42000007
	ds_read_b32 v67, v7 offset:21184                           // 000000010A70: D86C52C0 43000007
	ds_read_b32 v68, v7 offset:21248                           // 000000010A78: D86C5300 44000007
	ds_read_b32 v69, v7 offset:21312                           // 000000010A80: D86C5340 45000007
	ds_read_b32 v70, v7 offset:21376                           // 000000010A88: D86C5380 46000007
	ds_read_b32 v71, v7 offset:21440                           // 000000010A90: D86C53C0 47000007
	ds_read_b32 v72, v7 offset:21504                           // 000000010A98: D86C5400 48000007
	ds_read_b32 v73, v7 offset:21568                           // 000000010AA0: D86C5440 49000007
	ds_read_b32 v74, v7 offset:21632                           // 000000010AA8: D86C5480 4A000007
	ds_read_b32 v75, v7 offset:21696                           // 000000010AB0: D86C54C0 4B000007
	ds_read_b32 v76, v7 offset:21760                           // 000000010AB8: D86C5500 4C000007
	ds_read_b32 v77, v7 offset:21824                           // 000000010AC0: D86C5540 4D000007
	ds_read_b32 v78, v7 offset:21888                           // 000000010AC8: D86C5580 4E000007
	ds_read_b32 v79, v7 offset:21952                           // 000000010AD0: D86C55C0 4F000007
	v_mul_f32_e32 v38, v49, v38                                // 000000010AD8: 0A4C4D31
	v_mov_b32_e32 v15, v112                                    // 000000010ADC: 7E1E0370
	v_add_f32_e32 v15, v113, v15                               // 000000010AE0: 021E1F71
	v_add_f32_e32 v15, v114, v15                               // 000000010AE4: 021E1F72
	v_add_f32_e32 v15, v115, v15                               // 000000010AE8: 021E1F73
	v_add_f32_e32 v15, v116, v15                               // 000000010AEC: 021E1F74
	v_add_f32_e32 v15, v117, v15                               // 000000010AF0: 021E1F75
	v_add_f32_e32 v15, v118, v15                               // 000000010AF4: 021E1F76
	v_add_f32_e32 v15, v119, v15                               // 000000010AF8: 021E1F77
	v_add_f32_e32 v15, v120, v15                               // 000000010AFC: 021E1F78
	v_add_f32_e32 v15, v121, v15                               // 000000010B00: 021E1F79
	v_add_f32_e32 v15, v122, v15                               // 000000010B04: 021E1F7A
	v_add_f32_e32 v15, v123, v15                               // 000000010B08: 021E1F7B
	v_add_f32_e32 v15, v124, v15                               // 000000010B0C: 021E1F7C
	v_add_f32_e32 v15, v125, v15                               // 000000010B10: 021E1F7D
	v_add_f32_e32 v15, v126, v15                               // 000000010B14: 021E1F7E
	v_add_f32_e32 v15, v127, v15                               // 000000010B18: 021E1F7F
	v_add_f32_e32 v38, v15, v38                                // 000000010B1C: 024C4D0F
	s_waitcnt lgkmcnt(0)                                       // 000000010B20: BF8CC07F
	v_max3_f32 v48, |v64|, |v65|, v48                          // 000000010B24: D1D30330 04C28340
	v_max3_f32 v48, |v66|, |v67|, v48                          // 000000010B2C: D1D30330 04C28742
	v_max3_f32 v48, |v68|, |v69|, v48                          // 000000010B34: D1D30330 04C28B44
	v_max3_f32 v48, |v70|, |v71|, v48                          // 000000010B3C: D1D30330 04C28F46
	v_max3_f32 v48, |v72|, |v73|, v48                          // 000000010B44: D1D30330 04C29348
	v_max3_f32 v48, |v74|, |v75|, v48                          // 000000010B4C: D1D30330 04C2974A
	v_max3_f32 v48, |v76|, |v77|, v48                          // 000000010B54: D1D30330 04C29B4C
	v_max3_f32 v48, |v78|, |v79|, v48                          // 000000010B5C: D1D30330 04C29F4E
	s_nop 2                                                    // 000000010B64: BF800002
	v_rcp_f32_e32 v48, v48                                     // 000000010B68: 7E604530
	s_nop 1                                                    // 000000010B6C: BF800001
	v_mul_f32_e32 v48, 0x43e00000, v48                         // 000000010B70: 0A6060FF 43E00000
	v_mul_f32_e32 v112, v48, v240                              // 000000010B78: 0AE1E130
	v_mul_f32_e32 v113, v48, v241                              // 000000010B7C: 0AE3E330
	v_mul_f32_e32 v114, v48, v242                              // 000000010B80: 0AE5E530
	v_mul_f32_e32 v115, v48, v243                              // 000000010B84: 0AE7E730
	v_mul_f32_e32 v116, v48, v244                              // 000000010B88: 0AE9E930
	v_mul_f32_e32 v117, v48, v245                              // 000000010B8C: 0AEBEB30
	v_mul_f32_e32 v118, v48, v246                              // 000000010B90: 0AEDED30
	v_mul_f32_e32 v119, v48, v247                              // 000000010B94: 0AEFEF30
	v_mul_f32_e32 v120, v48, v248                              // 000000010B98: 0AF1F130
	v_mul_f32_e32 v121, v48, v249                              // 000000010B9C: 0AF3F330
	v_mul_f32_e32 v122, v48, v250                              // 000000010BA0: 0AF5F530
	v_mul_f32_e32 v123, v48, v251                              // 000000010BA4: 0AF7F730
	v_mul_f32_e32 v124, v48, v252                              // 000000010BA8: 0AF9F930
	v_mul_f32_e32 v125, v48, v253                              // 000000010BAC: 0AFBFB30
	v_mul_f32_e32 v126, v48, v254                              // 000000010BB0: 0AFDFD30
	v_mul_f32_e32 v127, v48, v255                              // 000000010BB4: 0AFFFF30
	v_cvt_pk_fp8_f32 v112, v112, v113                          // 000000010BB8: D2A20070 0002E370
	v_cvt_pk_fp8_f32 v112, v114, v115 op_sel:[0,0,1]           // 000000010BC0: D2A24070 0002E772
	v_cvt_pk_fp8_f32 v113, v116, v117                          // 000000010BC8: D2A20071 0002EB74
	v_cvt_pk_fp8_f32 v113, v118, v119 op_sel:[0,0,1]           // 000000010BD0: D2A24071 0002EF76
	v_cvt_pk_fp8_f32 v114, v120, v121                          // 000000010BD8: D2A20072 0002F378
	v_cvt_pk_fp8_f32 v114, v122, v123 op_sel:[0,0,1]           // 000000010BE0: D2A24072 0002F77A
	v_cvt_pk_fp8_f32 v115, v124, v125                          // 000000010BE8: D2A20073 0002FB7C
	v_cvt_pk_fp8_f32 v115, v126, v127 op_sel:[0,0,1]           // 000000010BF0: D2A24073 0002FF7E
	ds_write_b32 v10, v112 offset:25088                        // 000000010BF8: D81A6200 0000700A
	ds_write_b32 v10, v113 offset:26112                        // 000000010C00: D81A6600 0000710A
	ds_write_b32 v10, v114 offset:27136                        // 000000010C08: D81A6A00 0000720A
	ds_write_b32 v10, v115 offset:28160                        // 000000010C10: D81A6E00 0000730A
	v_add_f32_e32 v208, v208, v176                             // 000000010C18: 03A161D0
	v_add_f32_e32 v209, v209, v177                             // 000000010C1C: 03A363D1
	v_add_f32_e32 v210, v210, v178                             // 000000010C20: 03A565D2
	v_add_f32_e32 v211, v211, v179                             // 000000010C24: 03A767D3
	v_add_f32_e32 v212, v212, v180                             // 000000010C28: 03A969D4
	v_add_f32_e32 v213, v213, v181                             // 000000010C2C: 03AB6BD5
	v_add_f32_e32 v214, v214, v182                             // 000000010C30: 03AD6DD6
	v_add_f32_e32 v215, v215, v183                             // 000000010C34: 03AF6FD7
	v_rcp_f32_e32 v44, v48                                     // 000000010C38: 7E584530
	s_waitcnt lgkmcnt(0)                                       // 000000010C3C: BF8CC07F
	s_barrier                                                  // 000000010C40: BF8A0000
	ds_read_b64 v[112:113], v9 offset:25088                    // 000000010C44: D8EC6200 70000009
	ds_read_b64 v[114:115], v9 offset:25216                    // 000000010C4C: D8EC6280 72000009
	ds_read_b64 v[116:117], v9 offset:26112                    // 000000010C54: D8EC6600 74000009
	ds_read_b64 v[118:119], v9 offset:26240                    // 000000010C5C: D8EC6680 76000009
	ds_read_b64 v[120:121], v9 offset:27136                    // 000000010C64: D8EC6A00 78000009
	ds_read_b64 v[122:123], v9 offset:27264                    // 000000010C6C: D8EC6A80 7A000009
	ds_read_b64 v[124:125], v9 offset:28160                    // 000000010C74: D8EC6E00 7C000009
	ds_read_b64 v[126:127], v9 offset:28288                    // 000000010C7C: D8EC6E80 7E000009
	v_mov_b32_dpp v64, v43 row_shr:4 row_mask:0xf bank_mask:0xf// 000000010C84: 7E8002FA FF01142B
	v_mov_b32_dpp v65, v43 row_shl:4 row_mask:0xf bank_mask:0xf// 000000010C8C: 7E8202FA FF01042B
	v_cndmask_b32_e64 v248, v43, v64, s[44:45]                 // 000000010C94: D10000F8 00B2812B
	v_cndmask_b32_e64 v249, v65, v43, s[44:45]                 // 000000010C9C: D10000F9 00B25741
	v_mov_b32_dpp v64, v248 row_shr:8 row_mask:0xf bank_mask:0xf// 000000010CA4: 7E8002FA FF0118F8
	v_mov_b32_dpp v65, v248 row_shl:8 row_mask:0xf bank_mask:0xf// 000000010CAC: 7E8202FA FF0108F8
	v_mov_b32_dpp v66, v249 row_shr:8 row_mask:0xf bank_mask:0xf// 000000010CB4: 7E8402FA FF0118F9
	v_mov_b32_dpp v67, v249 row_shl:8 row_mask:0xf bank_mask:0xf// 000000010CBC: 7E8602FA FF0108F9
	v_mov_b32_e32 v68, v248                                    // 000000010CC4: 7E8803F8
	v_mov_b32_e32 v69, v249                                    // 000000010CC8: 7E8A03F9
	v_cndmask_b32_e64 v248, v68, v64, s[42:43]                 // 000000010CCC: D10000F8 00AA8144
	v_cndmask_b32_e64 v250, v68, v65, s[78:79]                 // 000000010CD4: D10000FA 013A8344
	v_cndmask_b32_e64 v249, v69, v66, s[42:43]                 // 000000010CDC: D10000F9 00AA8545
	v_cndmask_b32_e64 v251, v69, v67, s[78:79]                 // 000000010CE4: D10000FB 013A8745
	v_mov_b32_dpp v64, v58 row_shr:4 row_mask:0xf bank_mask:0xf// 000000010CEC: 7E8002FA FF01143A
	v_mov_b32_dpp v65, v58 row_shl:4 row_mask:0xf bank_mask:0xf// 000000010CF4: 7E8202FA FF01043A
	v_cndmask_b32_e64 v252, v58, v64, s[44:45]                 // 000000010CFC: D10000FC 00B2813A
	v_cndmask_b32_e64 v253, v65, v58, s[44:45]                 // 000000010D04: D10000FD 00B27541
	v_mov_b32_dpp v64, v252 row_shr:8 row_mask:0xf bank_mask:0xf// 000000010D0C: 7E8002FA FF0118FC
	v_mov_b32_dpp v65, v252 row_shl:8 row_mask:0xf bank_mask:0xf// 000000010D14: 7E8202FA FF0108FC
	v_mov_b32_dpp v66, v253 row_shr:8 row_mask:0xf bank_mask:0xf// 000000010D1C: 7E8402FA FF0118FD
	v_mov_b32_dpp v67, v253 row_shl:8 row_mask:0xf bank_mask:0xf// 000000010D24: 7E8602FA FF0108FD
	v_mov_b32_e32 v68, v252                                    // 000000010D2C: 7E8803FC
	v_mov_b32_e32 v69, v253                                    // 000000010D30: 7E8A03FD
	v_cndmask_b32_e64 v252, v68, v64, s[42:43]                 // 000000010D34: D10000FC 00AA8144
	v_cndmask_b32_e64 v254, v68, v65, s[78:79]                 // 000000010D3C: D10000FE 013A8344
	v_cndmask_b32_e64 v253, v69, v66, s[42:43]                 // 000000010D44: D10000FD 00AA8545
	v_cndmask_b32_e64 v255, v69, v67, s[78:79]                 // 000000010D4C: D10000FF 013A8745
	v_mul_f32_e32 v128, v19, v128                              // 000000010D54: 0B010113
	v_mul_f32_e32 v129, v19, v129                              // 000000010D58: 0B030313
	v_mul_f32_e32 v130, v19, v130                              // 000000010D5C: 0B050513
	v_mul_f32_e32 v131, v19, v131                              // 000000010D60: 0B070713
	v_mul_f32_e32 v132, v19, v132                              // 000000010D64: 0B090913
	v_mul_f32_e32 v133, v19, v133                              // 000000010D68: 0B0B0B13
	v_mul_f32_e32 v134, v19, v134                              // 000000010D6C: 0B0D0D13
	v_mul_f32_e32 v135, v19, v135                              // 000000010D70: 0B0F0F13
	v_mul_f32_e32 v136, v19, v136                              // 000000010D74: 0B111113
	v_mul_f32_e32 v137, v19, v137                              // 000000010D78: 0B131313
	v_mul_f32_e32 v138, v19, v138                              // 000000010D7C: 0B151513
	v_mul_f32_e32 v139, v19, v139                              // 000000010D80: 0B171713
	v_mul_f32_e32 v140, v19, v140                              // 000000010D84: 0B191913
	v_mul_f32_e32 v141, v19, v141                              // 000000010D88: 0B1B1B13
	v_mul_f32_e32 v142, v19, v142                              // 000000010D8C: 0B1D1D13
	v_mul_f32_e32 v143, v19, v143                              // 000000010D90: 0B1F1F13
	v_mul_f32_dpp v128, v248, v128 quad_perm:[0,0,0,0] row_mask:0xf bank_mask:0xf// 000000010D94: 0B0100FA FF0000F8
	v_mul_f32_dpp v129, v248, v129 quad_perm:[1,1,1,1] row_mask:0xf bank_mask:0xf// 000000010D9C: 0B0302FA FF0055F8
	v_mul_f32_dpp v130, v248, v130 quad_perm:[2,2,2,2] row_mask:0xf bank_mask:0xf// 000000010DA4: 0B0504FA FF00AAF8
	v_mul_f32_dpp v131, v248, v131 quad_perm:[3,3,3,3] row_mask:0xf bank_mask:0xf// 000000010DAC: 0B0706FA FF00FFF8
	v_mul_f32_dpp v132, v249, v132 quad_perm:[0,0,0,0] row_mask:0xf bank_mask:0xf// 000000010DB4: 0B0908FA FF0000F9
	v_mul_f32_dpp v133, v249, v133 quad_perm:[1,1,1,1] row_mask:0xf bank_mask:0xf// 000000010DBC: 0B0B0AFA FF0055F9
	v_mul_f32_dpp v134, v249, v134 quad_perm:[2,2,2,2] row_mask:0xf bank_mask:0xf// 000000010DC4: 0B0D0CFA FF00AAF9
	v_mul_f32_dpp v135, v249, v135 quad_perm:[3,3,3,3] row_mask:0xf bank_mask:0xf// 000000010DCC: 0B0F0EFA FF00FFF9
	v_mul_f32_dpp v136, v250, v136 quad_perm:[0,0,0,0] row_mask:0xf bank_mask:0xf// 000000010DD4: 0B1110FA FF0000FA
	v_mul_f32_dpp v137, v250, v137 quad_perm:[1,1,1,1] row_mask:0xf bank_mask:0xf// 000000010DDC: 0B1312FA FF0055FA
	v_mul_f32_dpp v138, v250, v138 quad_perm:[2,2,2,2] row_mask:0xf bank_mask:0xf// 000000010DE4: 0B1514FA FF00AAFA
	v_mul_f32_dpp v139, v250, v139 quad_perm:[3,3,3,3] row_mask:0xf bank_mask:0xf// 000000010DEC: 0B1716FA FF00FFFA
	v_mul_f32_dpp v140, v251, v140 quad_perm:[0,0,0,0] row_mask:0xf bank_mask:0xf// 000000010DF4: 0B1918FA FF0000FB
	v_mul_f32_dpp v141, v251, v141 quad_perm:[1,1,1,1] row_mask:0xf bank_mask:0xf// 000000010DFC: 0B1B1AFA FF0055FB
	v_mul_f32_dpp v142, v251, v142 quad_perm:[2,2,2,2] row_mask:0xf bank_mask:0xf// 000000010E04: 0B1D1CFA FF00AAFB
	v_mul_f32_dpp v143, v251, v143 quad_perm:[3,3,3,3] row_mask:0xf bank_mask:0xf// 000000010E0C: 0B1F1EFA FF00FFFB
	v_mov_b32_e32 v48, v128                                    // 000000010E14: 7E600380
	v_max3_f32 v48, v128, v129, v48                            // 000000010E18: D1D30030 04C30380
	v_max3_f32 v48, v130, v131, v48                            // 000000010E20: D1D30030 04C30782
	v_max3_f32 v48, v132, v133, v48                            // 000000010E28: D1D30030 04C30B84
	v_max3_f32 v48, v134, v135, v48                            // 000000010E30: D1D30030 04C30F86
	v_max3_f32 v48, v136, v137, v48                            // 000000010E38: D1D30030 04C31388
	v_max3_f32 v48, v138, v139, v48                            // 000000010E40: D1D30030 04C3178A
	v_max3_f32 v48, v140, v141, v48                            // 000000010E48: D1D30030 04C31B8C
	v_max3_f32 v48, v142, v143, v48                            // 000000010E50: D1D30030 04C31F8E
	ds_write_b32 v8, v48 offset:16896                          // 000000010E58: D81A4200 00003008
	v_mul_f32_e32 v216, v50, v216                              // 000000010E60: 0BB1B132
	v_mul_f32_e32 v217, v50, v217                              // 000000010E64: 0BB3B332
	v_mul_f32_e32 v218, v50, v218                              // 000000010E68: 0BB5B532
	v_mul_f32_e32 v219, v50, v219                              // 000000010E6C: 0BB7B732
	v_mul_f32_e32 v220, v50, v220                              // 000000010E70: 0BB9B932
	v_mul_f32_e32 v221, v50, v221                              // 000000010E74: 0BBBBB32
	v_mul_f32_e32 v222, v50, v222                              // 000000010E78: 0BBDBD32
	v_mul_f32_e32 v223, v50, v223                              // 000000010E7C: 0BBFBF32
	s_waitcnt lgkmcnt(0)                                       // 000000010E80: BF8CC07F
	s_barrier                                                  // 000000010E84: BF8A0000
	ds_read_b32 v64, v7 offset:16896                           // 000000010E88: D86C4200 40000007
	ds_read_b32 v65, v7 offset:16960                           // 000000010E90: D86C4240 41000007
	ds_read_b32 v66, v7 offset:17024                           // 000000010E98: D86C4280 42000007
	ds_read_b32 v67, v7 offset:17088                           // 000000010EA0: D86C42C0 43000007
	ds_read_b32 v68, v7 offset:17152                           // 000000010EA8: D86C4300 44000007
	ds_read_b32 v69, v7 offset:17216                           // 000000010EB0: D86C4340 45000007
	ds_read_b32 v70, v7 offset:17280                           // 000000010EB8: D86C4380 46000007
	ds_read_b32 v71, v7 offset:17344                           // 000000010EC0: D86C43C0 47000007
	ds_read_b32 v72, v7 offset:17408                           // 000000010EC8: D86C4400 48000007
	ds_read_b32 v73, v7 offset:17472                           // 000000010ED0: D86C4440 49000007
	ds_read_b32 v74, v7 offset:17536                           // 000000010ED8: D86C4480 4A000007
	ds_read_b32 v75, v7 offset:17600                           // 000000010EE0: D86C44C0 4B000007
	ds_read_b32 v76, v7 offset:17664                           // 000000010EE8: D86C4500 4C000007
	ds_read_b32 v77, v7 offset:17728                           // 000000010EF0: D86C4540 4D000007
	ds_read_b32 v78, v7 offset:17792                           // 000000010EF8: D86C4580 4E000007
	ds_read_b32 v79, v7 offset:17856                           // 000000010F00: D86C45C0 4F000007
	v_mul_f32_e32 v184, v45, v184                              // 000000010F08: 0B71712D
	v_mul_f32_e32 v185, v45, v185                              // 000000010F0C: 0B73732D
	v_mul_f32_e32 v186, v45, v186                              // 000000010F10: 0B75752D
	v_mul_f32_e32 v187, v45, v187                              // 000000010F14: 0B77772D
	v_mul_f32_e32 v188, v45, v188                              // 000000010F18: 0B79792D
	v_mul_f32_e32 v189, v45, v189                              // 000000010F1C: 0B7B7B2D
	v_mul_f32_e32 v190, v45, v190                              // 000000010F20: 0B7D7D2D
	v_mul_f32_e32 v191, v45, v191                              // 000000010F24: 0B7F7F2D
	s_waitcnt lgkmcnt(0)                                       // 000000010F28: BF8CC07F
	v_max3_f32 v48, v64, v65, v48                              // 000000010F2C: D1D30030 04C28340
	v_max3_f32 v48, v66, v67, v48                              // 000000010F34: D1D30030 04C28742
	v_max3_f32 v48, v68, v69, v48                              // 000000010F3C: D1D30030 04C28B44
	v_max3_f32 v48, v70, v71, v48                              // 000000010F44: D1D30030 04C28F46
	v_max3_f32 v48, v72, v73, v48                              // 000000010F4C: D1D30030 04C29348
	v_max3_f32 v48, v74, v75, v48                              // 000000010F54: D1D30030 04C2974A
	v_max3_f32 v48, v76, v77, v48                              // 000000010F5C: D1D30030 04C29B4C
	v_max3_f32 v48, v78, v79, v48                              // 000000010F64: D1D30030 04C29F4E
	v_mov_b32_e32 v64, 0xff800000                              // 000000010F6C: 7E8002FF FF800000
	v_cmp_eq_u32_e64 s[40:41], v64, v12                        // 000000010F74: D0CA0028 00021940
	s_nop 1                                                    // 000000010F7C: BF800001
	v_max_f32_e32 v15, v48, v12                                // 000000010F80: 161E1930
	v_mul_f32_e32 v53, s64, v15                                // 000000010F84: 0A6A1E40
	v_fma_f32 v128, v128, s64, -v53                            // 000000010F88: D1CB0080 84D48180
	v_fma_f32 v129, v129, s64, -v53                            // 000000010F90: D1CB0081 84D48181
	v_fma_f32 v130, v130, s64, -v53                            // 000000010F98: D1CB0082 84D48182
	v_fma_f32 v131, v131, s64, -v53                            // 000000010FA0: D1CB0083 84D48183
	v_fma_f32 v132, v132, s64, -v53                            // 000000010FA8: D1CB0084 84D48184
	v_fma_f32 v133, v133, s64, -v53                            // 000000010FB0: D1CB0085 84D48185
	v_fma_f32 v134, v134, s64, -v53                            // 000000010FB8: D1CB0086 84D48186
	v_fma_f32 v135, v135, s64, -v53                            // 000000010FC0: D1CB0087 84D48187
	v_fma_f32 v136, v136, s64, -v53                            // 000000010FC8: D1CB0088 84D48188
	v_fma_f32 v137, v137, s64, -v53                            // 000000010FD0: D1CB0089 84D48189
	v_fma_f32 v138, v138, s64, -v53                            // 000000010FD8: D1CB008A 84D4818A
	v_fma_f32 v139, v139, s64, -v53                            // 000000010FE0: D1CB008B 84D4818B
	v_fma_f32 v140, v140, s64, -v53                            // 000000010FE8: D1CB008C 84D4818C
	v_fma_f32 v141, v141, s64, -v53                            // 000000010FF0: D1CB008D 84D4818D
	v_fma_f32 v142, v142, s64, -v53                            // 000000010FF8: D1CB008E 84D4818E
	v_fma_f32 v143, v143, s64, -v53                            // 000000011000: D1CB008F 84D4818F
	v_exp_f32_e32 v128, v128                                   // 000000011008: 7F004180
	v_exp_f32_e32 v129, v129                                   // 00000001100C: 7F024181
	v_exp_f32_e32 v130, v130                                   // 000000011010: 7F044182
	v_exp_f32_e32 v131, v131                                   // 000000011014: 7F064183
	v_exp_f32_e32 v132, v132                                   // 000000011018: 7F084184
	v_exp_f32_e32 v133, v133                                   // 00000001101C: 7F0A4185
	v_exp_f32_e32 v134, v134                                   // 000000011020: 7F0C4186
	v_exp_f32_e32 v135, v135                                   // 000000011024: 7F0E4187
	v_exp_f32_e32 v136, v136                                   // 000000011028: 7F104188
	v_exp_f32_e32 v137, v137                                   // 00000001102C: 7F124189
	v_exp_f32_e32 v138, v138                                   // 000000011030: 7F14418A
	v_exp_f32_e32 v139, v139                                   // 000000011034: 7F16418B
	v_exp_f32_e32 v140, v140                                   // 000000011038: 7F18418C
	v_exp_f32_e32 v141, v141                                   // 00000001103C: 7F1A418D
	v_exp_f32_e32 v142, v142                                   // 000000011040: 7F1C418E
	v_exp_f32_e32 v143, v143                                   // 000000011044: 7F1E418F
	v_mul_f32_dpp v240, v252, v128 quad_perm:[0,0,0,0] row_mask:0xf bank_mask:0xf// 000000011048: 0BE100FA FF0000FC
	v_mul_f32_dpp v241, v252, v129 quad_perm:[1,1,1,1] row_mask:0xf bank_mask:0xf// 000000011050: 0BE302FA FF0055FC
	v_mul_f32_dpp v242, v252, v130 quad_perm:[2,2,2,2] row_mask:0xf bank_mask:0xf// 000000011058: 0BE504FA FF00AAFC
	v_mul_f32_dpp v243, v252, v131 quad_perm:[3,3,3,3] row_mask:0xf bank_mask:0xf// 000000011060: 0BE706FA FF00FFFC
	v_mul_f32_dpp v244, v253, v132 quad_perm:[0,0,0,0] row_mask:0xf bank_mask:0xf// 000000011068: 0BE908FA FF0000FD
	v_mul_f32_dpp v245, v253, v133 quad_perm:[1,1,1,1] row_mask:0xf bank_mask:0xf// 000000011070: 0BEB0AFA FF0055FD
	v_mul_f32_dpp v246, v253, v134 quad_perm:[2,2,2,2] row_mask:0xf bank_mask:0xf// 000000011078: 0BED0CFA FF00AAFD
	v_mul_f32_dpp v247, v253, v135 quad_perm:[3,3,3,3] row_mask:0xf bank_mask:0xf// 000000011080: 0BEF0EFA FF00FFFD
	v_mul_f32_dpp v248, v254, v136 quad_perm:[0,0,0,0] row_mask:0xf bank_mask:0xf// 000000011088: 0BF110FA FF0000FE
	v_mul_f32_dpp v249, v254, v137 quad_perm:[1,1,1,1] row_mask:0xf bank_mask:0xf// 000000011090: 0BF312FA FF0055FE
	v_mul_f32_dpp v250, v254, v138 quad_perm:[2,2,2,2] row_mask:0xf bank_mask:0xf// 000000011098: 0BF514FA FF00AAFE
	v_mul_f32_dpp v251, v254, v139 quad_perm:[3,3,3,3] row_mask:0xf bank_mask:0xf// 0000000110A0: 0BF716FA FF00FFFE
	v_mul_f32_dpp v252, v255, v140 quad_perm:[0,0,0,0] row_mask:0xf bank_mask:0xf// 0000000110A8: 0BF918FA FF0000FF
	v_mul_f32_dpp v253, v255, v141 quad_perm:[1,1,1,1] row_mask:0xf bank_mask:0xf// 0000000110B0: 0BFB1AFA FF0055FF
	v_mul_f32_dpp v254, v255, v142 quad_perm:[2,2,2,2] row_mask:0xf bank_mask:0xf// 0000000110B8: 0BFD1CFA FF00AAFF
	v_mul_f32_dpp v255, v255, v143 quad_perm:[3,3,3,3] row_mask:0xf bank_mask:0xf// 0000000110C0: 0BFF1EFA FF00FFFF
	v_mov_b32_e32 v48, 0x358637bd                              // 0000000110C8: 7E6002FF 358637BD
	v_max3_f32 v48, |v240|, |v241|, v48                        // 0000000110D0: D1D30330 04C3E3F0
	v_max3_f32 v48, |v242|, |v243|, v48                        // 0000000110D8: D1D30330 04C3E7F2
	v_max3_f32 v48, |v244|, |v245|, v48                        // 0000000110E0: D1D30330 04C3EBF4
	v_max3_f32 v48, |v246|, |v247|, v48                        // 0000000110E8: D1D30330 04C3EFF6
	v_max3_f32 v48, |v248|, |v249|, v48                        // 0000000110F0: D1D30330 04C3F3F8
	v_max3_f32 v48, |v250|, |v251|, v48                        // 0000000110F8: D1D30330 04C3F7FA
	v_max3_f32 v48, |v252|, |v253|, v48                        // 000000011100: D1D30330 04C3FBFC
	v_max3_f32 v48, |v254|, |v255|, v48                        // 000000011108: D1D30330 04C3FFFE
	ds_write_b32 v8, v48 offset:20992                          // 000000011110: D81A5200 00003008
	v_sub_f32_e32 v50, v12, v15                                // 000000011118: 04641F0C
	v_cndmask_b32_e64 v50, v50, 0, s[40:41]                    // 00000001111C: D1000032 00A10132
	v_mov_b32_e32 v12, v15                                     // 000000011124: 7E18030F
	v_mul_f32_e32 v50, s64, v50                                // 000000011128: 0A646440
	v_exp_f32_e32 v50, v50                                     // 00000001112C: 7E644132
	s_waitcnt lgkmcnt(0)                                       // 000000011130: BF8CC07F
	s_barrier                                                  // 000000011134: BF8A0000
	ds_read_b32 v64, v7 offset:20992                           // 000000011138: D86C5200 40000007
	ds_read_b32 v65, v7 offset:21056                           // 000000011140: D86C5240 41000007
	ds_read_b32 v66, v7 offset:21120                           // 000000011148: D86C5280 42000007
	ds_read_b32 v67, v7 offset:21184                           // 000000011150: D86C52C0 43000007
	ds_read_b32 v68, v7 offset:21248                           // 000000011158: D86C5300 44000007
	ds_read_b32 v69, v7 offset:21312                           // 000000011160: D86C5340 45000007
	ds_read_b32 v70, v7 offset:21376                           // 000000011168: D86C5380 46000007
	ds_read_b32 v71, v7 offset:21440                           // 000000011170: D86C53C0 47000007
	ds_read_b32 v72, v7 offset:21504                           // 000000011178: D86C5400 48000007
	ds_read_b32 v73, v7 offset:21568                           // 000000011180: D86C5440 49000007
	ds_read_b32 v74, v7 offset:21632                           // 000000011188: D86C5480 4A000007
	ds_read_b32 v75, v7 offset:21696                           // 000000011190: D86C54C0 4B000007
	ds_read_b32 v76, v7 offset:21760                           // 000000011198: D86C5500 4C000007
	ds_read_b32 v77, v7 offset:21824                           // 0000000111A0: D86C5540 4D000007
	ds_read_b32 v78, v7 offset:21888                           // 0000000111A8: D86C5580 4E000007
	ds_read_b32 v79, v7 offset:21952                           // 0000000111B0: D86C55C0 4F000007
	v_mul_f32_e32 v39, v50, v39                                // 0000000111B8: 0A4E4F32
	v_mov_b32_e32 v15, v128                                    // 0000000111BC: 7E1E0380
	v_add_f32_e32 v15, v129, v15                               // 0000000111C0: 021E1F81
	v_add_f32_e32 v15, v130, v15                               // 0000000111C4: 021E1F82
	v_add_f32_e32 v15, v131, v15                               // 0000000111C8: 021E1F83
	v_add_f32_e32 v15, v132, v15                               // 0000000111CC: 021E1F84
	v_add_f32_e32 v15, v133, v15                               // 0000000111D0: 021E1F85
	v_add_f32_e32 v15, v134, v15                               // 0000000111D4: 021E1F86
	v_add_f32_e32 v15, v135, v15                               // 0000000111D8: 021E1F87
	v_add_f32_e32 v15, v136, v15                               // 0000000111DC: 021E1F88
	v_add_f32_e32 v15, v137, v15                               // 0000000111E0: 021E1F89
	v_add_f32_e32 v15, v138, v15                               // 0000000111E4: 021E1F8A
	v_add_f32_e32 v15, v139, v15                               // 0000000111E8: 021E1F8B
	v_add_f32_e32 v15, v140, v15                               // 0000000111EC: 021E1F8C
	v_add_f32_e32 v15, v141, v15                               // 0000000111F0: 021E1F8D
	v_add_f32_e32 v15, v142, v15                               // 0000000111F4: 021E1F8E
	v_add_f32_e32 v15, v143, v15                               // 0000000111F8: 021E1F8F
	v_add_f32_e32 v39, v15, v39                                // 0000000111FC: 024E4F0F
	s_waitcnt lgkmcnt(0)                                       // 000000011200: BF8CC07F
	v_max3_f32 v48, |v64|, |v65|, v48                          // 000000011204: D1D30330 04C28340
	v_max3_f32 v48, |v66|, |v67|, v48                          // 00000001120C: D1D30330 04C28742
	v_max3_f32 v48, |v68|, |v69|, v48                          // 000000011214: D1D30330 04C28B44
	v_max3_f32 v48, |v70|, |v71|, v48                          // 00000001121C: D1D30330 04C28F46
	v_max3_f32 v48, |v72|, |v73|, v48                          // 000000011224: D1D30330 04C29348
	v_max3_f32 v48, |v74|, |v75|, v48                          // 00000001122C: D1D30330 04C2974A
	v_max3_f32 v48, |v76|, |v77|, v48                          // 000000011234: D1D30330 04C29B4C
	v_max3_f32 v48, |v78|, |v79|, v48                          // 00000001123C: D1D30330 04C29F4E
	s_nop 2                                                    // 000000011244: BF800002
	v_rcp_f32_e32 v48, v48                                     // 000000011248: 7E604530
	s_nop 1                                                    // 00000001124C: BF800001
	v_mul_f32_e32 v48, 0x43e00000, v48                         // 000000011250: 0A6060FF 43E00000
	v_mul_f32_e32 v128, v48, v240                              // 000000011258: 0B01E130
	v_mul_f32_e32 v129, v48, v241                              // 00000001125C: 0B03E330
	v_mul_f32_e32 v130, v48, v242                              // 000000011260: 0B05E530
	v_mul_f32_e32 v131, v48, v243                              // 000000011264: 0B07E730
	v_mul_f32_e32 v132, v48, v244                              // 000000011268: 0B09E930
	v_mul_f32_e32 v133, v48, v245                              // 00000001126C: 0B0BEB30
	v_mul_f32_e32 v134, v48, v246                              // 000000011270: 0B0DED30
	v_mul_f32_e32 v135, v48, v247                              // 000000011274: 0B0FEF30
	v_mul_f32_e32 v136, v48, v248                              // 000000011278: 0B11F130
	v_mul_f32_e32 v137, v48, v249                              // 00000001127C: 0B13F330
	v_mul_f32_e32 v138, v48, v250                              // 000000011280: 0B15F530
	v_mul_f32_e32 v139, v48, v251                              // 000000011284: 0B17F730
	v_mul_f32_e32 v140, v48, v252                              // 000000011288: 0B19F930
	v_mul_f32_e32 v141, v48, v253                              // 00000001128C: 0B1BFB30
	v_mul_f32_e32 v142, v48, v254                              // 000000011290: 0B1DFD30
	v_mul_f32_e32 v143, v48, v255                              // 000000011294: 0B1FFF30
	v_cvt_pk_fp8_f32 v128, v128, v129                          // 000000011298: D2A20080 00030380
	v_cvt_pk_fp8_f32 v128, v130, v131 op_sel:[0,0,1]           // 0000000112A0: D2A24080 00030782
	v_cvt_pk_fp8_f32 v129, v132, v133                          // 0000000112A8: D2A20081 00030B84
	v_cvt_pk_fp8_f32 v129, v134, v135 op_sel:[0,0,1]           // 0000000112B0: D2A24081 00030F86
	v_cvt_pk_fp8_f32 v130, v136, v137                          // 0000000112B8: D2A20082 00031388
	v_cvt_pk_fp8_f32 v130, v138, v139 op_sel:[0,0,1]           // 0000000112C0: D2A24082 0003178A
	v_cvt_pk_fp8_f32 v131, v140, v141                          // 0000000112C8: D2A20083 00031B8C
	v_cvt_pk_fp8_f32 v131, v142, v143 op_sel:[0,0,1]           // 0000000112D0: D2A24083 00031F8E
	ds_write_b32 v10, v128 offset:29184                        // 0000000112D8: D81A7200 0000800A
	ds_write_b32 v10, v129 offset:30208                        // 0000000112E0: D81A7600 0000810A
	ds_write_b32 v10, v130 offset:31232                        // 0000000112E8: D81A7A00 0000820A
	ds_write_b32 v10, v131 offset:32256                        // 0000000112F0: D81A7E00 0000830A
	v_add_f32_e32 v216, v216, v184                             // 0000000112F8: 03B171D8
	v_add_f32_e32 v217, v217, v185                             // 0000000112FC: 03B373D9
	v_add_f32_e32 v218, v218, v186                             // 000000011300: 03B575DA
	v_add_f32_e32 v219, v219, v187                             // 000000011304: 03B777DB
	v_add_f32_e32 v220, v220, v188                             // 000000011308: 03B979DC
	v_add_f32_e32 v221, v221, v189                             // 00000001130C: 03BB7BDD
	v_add_f32_e32 v222, v222, v190                             // 000000011310: 03BD7DDE
	v_add_f32_e32 v223, v223, v191                             // 000000011314: 03BF7FDF
	v_rcp_f32_e32 v45, v48                                     // 000000011318: 7E5A4530
	s_waitcnt lgkmcnt(0)                                       // 00000001131C: BF8CC07F
	s_barrier                                                  // 000000011320: BF8A0000
	ds_read_b64 v[128:129], v9 offset:29184                    // 000000011324: D8EC7200 80000009
	ds_read_b64 v[130:131], v9 offset:29312                    // 00000001132C: D8EC7280 82000009
	ds_read_b64 v[132:133], v9 offset:30208                    // 000000011334: D8EC7600 84000009
	ds_read_b64 v[134:135], v9 offset:30336                    // 00000001133C: D8EC7680 86000009
	ds_read_b64 v[136:137], v9 offset:31232                    // 000000011344: D8EC7A00 88000009
	ds_read_b64 v[138:139], v9 offset:31360                    // 00000001134C: D8EC7A80 8A000009
	ds_read_b64 v[140:141], v9 offset:32256                    // 000000011354: D8EC7E00 8C000009
	ds_read_b64 v[142:143], v9 offset:32384                    // 00000001135C: D8EC7E80 8E000009
	v_mov_b32_dpp v64, v43 row_shr:4 row_mask:0xf bank_mask:0xf// 000000011364: 7E8002FA FF01142B
	v_mov_b32_dpp v65, v43 row_shl:4 row_mask:0xf bank_mask:0xf// 00000001136C: 7E8202FA FF01042B
	v_cndmask_b32_e64 v248, v43, v64, s[44:45]                 // 000000011374: D10000F8 00B2812B
	v_cndmask_b32_e64 v249, v65, v43, s[44:45]                 // 00000001137C: D10000F9 00B25741
	v_mov_b32_dpp v64, v248 row_shr:8 row_mask:0xf bank_mask:0xf// 000000011384: 7E8002FA FF0118F8
	v_mov_b32_dpp v65, v248 row_shl:8 row_mask:0xf bank_mask:0xf// 00000001138C: 7E8202FA FF0108F8
	v_mov_b32_dpp v66, v249 row_shr:8 row_mask:0xf bank_mask:0xf// 000000011394: 7E8402FA FF0118F9
	v_mov_b32_dpp v67, v249 row_shl:8 row_mask:0xf bank_mask:0xf// 00000001139C: 7E8602FA FF0108F9
	v_mov_b32_e32 v68, v248                                    // 0000000113A4: 7E8803F8
	v_mov_b32_e32 v69, v249                                    // 0000000113A8: 7E8A03F9
	v_cndmask_b32_e64 v248, v68, v64, s[42:43]                 // 0000000113AC: D10000F8 00AA8144
	v_cndmask_b32_e64 v250, v68, v65, s[78:79]                 // 0000000113B4: D10000FA 013A8344
	v_cndmask_b32_e64 v249, v69, v66, s[42:43]                 // 0000000113BC: D10000F9 00AA8545
	v_cndmask_b32_e64 v251, v69, v67, s[78:79]                 // 0000000113C4: D10000FB 013A8745
	v_mov_b32_dpp v64, v58 row_shr:4 row_mask:0xf bank_mask:0xf// 0000000113CC: 7E8002FA FF01143A
	v_mov_b32_dpp v65, v58 row_shl:4 row_mask:0xf bank_mask:0xf// 0000000113D4: 7E8202FA FF01043A
	v_cndmask_b32_e64 v252, v58, v64, s[44:45]                 // 0000000113DC: D10000FC 00B2813A
	v_cndmask_b32_e64 v253, v65, v58, s[44:45]                 // 0000000113E4: D10000FD 00B27541
	v_mov_b32_dpp v64, v252 row_shr:8 row_mask:0xf bank_mask:0xf// 0000000113EC: 7E8002FA FF0118FC
	v_mov_b32_dpp v65, v252 row_shl:8 row_mask:0xf bank_mask:0xf// 0000000113F4: 7E8202FA FF0108FC
	v_mov_b32_dpp v66, v253 row_shr:8 row_mask:0xf bank_mask:0xf// 0000000113FC: 7E8402FA FF0118FD
	v_mov_b32_dpp v67, v253 row_shl:8 row_mask:0xf bank_mask:0xf// 000000011404: 7E8602FA FF0108FD
	v_mov_b32_e32 v68, v252                                    // 00000001140C: 7E8803FC
	v_mov_b32_e32 v69, v253                                    // 000000011410: 7E8A03FD
	v_cndmask_b32_e64 v252, v68, v64, s[42:43]                 // 000000011414: D10000FC 00AA8144
	v_cndmask_b32_e64 v254, v68, v65, s[78:79]                 // 00000001141C: D10000FE 013A8344
	v_cndmask_b32_e64 v253, v69, v66, s[42:43]                 // 000000011424: D10000FD 00AA8545
	v_cndmask_b32_e64 v255, v69, v67, s[78:79]                 // 00000001142C: D10000FF 013A8745
	v_mul_f32_e32 v144, v20, v144                              // 000000011434: 0B212114
	v_mul_f32_e32 v145, v20, v145                              // 000000011438: 0B232314
	v_mul_f32_e32 v146, v20, v146                              // 00000001143C: 0B252514
	v_mul_f32_e32 v147, v20, v147                              // 000000011440: 0B272714
	v_mul_f32_e32 v148, v20, v148                              // 000000011444: 0B292914
	v_mul_f32_e32 v149, v20, v149                              // 000000011448: 0B2B2B14
	v_mul_f32_e32 v150, v20, v150                              // 00000001144C: 0B2D2D14
	v_mul_f32_e32 v151, v20, v151                              // 000000011450: 0B2F2F14
	v_mul_f32_e32 v152, v20, v152                              // 000000011454: 0B313114
	v_mul_f32_e32 v153, v20, v153                              // 000000011458: 0B333314
	v_mul_f32_e32 v154, v20, v154                              // 00000001145C: 0B353514
	v_mul_f32_e32 v155, v20, v155                              // 000000011460: 0B373714
	v_mul_f32_e32 v156, v20, v156                              // 000000011464: 0B393914
	v_mul_f32_e32 v157, v20, v157                              // 000000011468: 0B3B3B14
	v_mul_f32_e32 v158, v20, v158                              // 00000001146C: 0B3D3D14
	v_mul_f32_e32 v159, v20, v159                              // 000000011470: 0B3F3F14
	v_mul_f32_dpp v144, v248, v144 quad_perm:[0,0,0,0] row_mask:0xf bank_mask:0xf// 000000011474: 0B2120FA FF0000F8
	v_mul_f32_dpp v145, v248, v145 quad_perm:[1,1,1,1] row_mask:0xf bank_mask:0xf// 00000001147C: 0B2322FA FF0055F8
	v_mul_f32_dpp v146, v248, v146 quad_perm:[2,2,2,2] row_mask:0xf bank_mask:0xf// 000000011484: 0B2524FA FF00AAF8
	v_mul_f32_dpp v147, v248, v147 quad_perm:[3,3,3,3] row_mask:0xf bank_mask:0xf// 00000001148C: 0B2726FA FF00FFF8
	v_mul_f32_dpp v148, v249, v148 quad_perm:[0,0,0,0] row_mask:0xf bank_mask:0xf// 000000011494: 0B2928FA FF0000F9
	v_mul_f32_dpp v149, v249, v149 quad_perm:[1,1,1,1] row_mask:0xf bank_mask:0xf// 00000001149C: 0B2B2AFA FF0055F9
	v_mul_f32_dpp v150, v249, v150 quad_perm:[2,2,2,2] row_mask:0xf bank_mask:0xf// 0000000114A4: 0B2D2CFA FF00AAF9
	v_mul_f32_dpp v151, v249, v151 quad_perm:[3,3,3,3] row_mask:0xf bank_mask:0xf// 0000000114AC: 0B2F2EFA FF00FFF9
	v_mul_f32_dpp v152, v250, v152 quad_perm:[0,0,0,0] row_mask:0xf bank_mask:0xf// 0000000114B4: 0B3130FA FF0000FA
	v_mul_f32_dpp v153, v250, v153 quad_perm:[1,1,1,1] row_mask:0xf bank_mask:0xf// 0000000114BC: 0B3332FA FF0055FA
	v_mul_f32_dpp v154, v250, v154 quad_perm:[2,2,2,2] row_mask:0xf bank_mask:0xf// 0000000114C4: 0B3534FA FF00AAFA
	v_mul_f32_dpp v155, v250, v155 quad_perm:[3,3,3,3] row_mask:0xf bank_mask:0xf// 0000000114CC: 0B3736FA FF00FFFA
	v_mul_f32_dpp v156, v251, v156 quad_perm:[0,0,0,0] row_mask:0xf bank_mask:0xf// 0000000114D4: 0B3938FA FF0000FB
	v_mul_f32_dpp v157, v251, v157 quad_perm:[1,1,1,1] row_mask:0xf bank_mask:0xf// 0000000114DC: 0B3B3AFA FF0055FB
	v_mul_f32_dpp v158, v251, v158 quad_perm:[2,2,2,2] row_mask:0xf bank_mask:0xf// 0000000114E4: 0B3D3CFA FF00AAFB
	v_mul_f32_dpp v159, v251, v159 quad_perm:[3,3,3,3] row_mask:0xf bank_mask:0xf// 0000000114EC: 0B3F3EFA FF00FFFB
	v_mov_b32_e32 v48, v144                                    // 0000000114F4: 7E600390
	v_max3_f32 v48, v144, v145, v48                            // 0000000114F8: D1D30030 04C32390
	v_max3_f32 v48, v146, v147, v48                            // 000000011500: D1D30030 04C32792
	v_max3_f32 v48, v148, v149, v48                            // 000000011508: D1D30030 04C32B94
	v_max3_f32 v48, v150, v151, v48                            // 000000011510: D1D30030 04C32F96
	v_max3_f32 v48, v152, v153, v48                            // 000000011518: D1D30030 04C33398
	v_max3_f32 v48, v154, v155, v48                            // 000000011520: D1D30030 04C3379A
	v_max3_f32 v48, v156, v157, v48                            // 000000011528: D1D30030 04C33B9C
	v_max3_f32 v48, v158, v159, v48                            // 000000011530: D1D30030 04C33F9E
	ds_write_b32 v8, v48 offset:16896                          // 000000011538: D81A4200 00003008
	v_mul_f32_e32 v224, v51, v224                              // 000000011540: 0BC1C133
	v_mul_f32_e32 v225, v51, v225                              // 000000011544: 0BC3C333
	v_mul_f32_e32 v226, v51, v226                              // 000000011548: 0BC5C533
	v_mul_f32_e32 v227, v51, v227                              // 00000001154C: 0BC7C733
	v_mul_f32_e32 v228, v51, v228                              // 000000011550: 0BC9C933
	v_mul_f32_e32 v229, v51, v229                              // 000000011554: 0BCBCB33
	v_mul_f32_e32 v230, v51, v230                              // 000000011558: 0BCDCD33
	v_mul_f32_e32 v231, v51, v231                              // 00000001155C: 0BCFCF33
	s_waitcnt lgkmcnt(0)                                       // 000000011560: BF8CC07F
	s_barrier                                                  // 000000011564: BF8A0000
	ds_read_b32 v64, v7 offset:16896                           // 000000011568: D86C4200 40000007
	ds_read_b32 v65, v7 offset:16960                           // 000000011570: D86C4240 41000007
	ds_read_b32 v66, v7 offset:17024                           // 000000011578: D86C4280 42000007
	ds_read_b32 v67, v7 offset:17088                           // 000000011580: D86C42C0 43000007
	ds_read_b32 v68, v7 offset:17152                           // 000000011588: D86C4300 44000007
	ds_read_b32 v69, v7 offset:17216                           // 000000011590: D86C4340 45000007
	ds_read_b32 v70, v7 offset:17280                           // 000000011598: D86C4380 46000007
	ds_read_b32 v71, v7 offset:17344                           // 0000000115A0: D86C43C0 47000007
	ds_read_b32 v72, v7 offset:17408                           // 0000000115A8: D86C4400 48000007
	ds_read_b32 v73, v7 offset:17472                           // 0000000115B0: D86C4440 49000007
	ds_read_b32 v74, v7 offset:17536                           // 0000000115B8: D86C4480 4A000007
	ds_read_b32 v75, v7 offset:17600                           // 0000000115C0: D86C44C0 4B000007
	ds_read_b32 v76, v7 offset:17664                           // 0000000115C8: D86C4500 4C000007
	ds_read_b32 v77, v7 offset:17728                           // 0000000115D0: D86C4540 4D000007
	ds_read_b32 v78, v7 offset:17792                           // 0000000115D8: D86C4580 4E000007
	ds_read_b32 v79, v7 offset:17856                           // 0000000115E0: D86C45C0 4F000007
	v_mul_f32_e32 v192, v46, v192                              // 0000000115E8: 0B81812E
	v_mul_f32_e32 v193, v46, v193                              // 0000000115EC: 0B83832E
	v_mul_f32_e32 v194, v46, v194                              // 0000000115F0: 0B85852E
	v_mul_f32_e32 v195, v46, v195                              // 0000000115F4: 0B87872E
	v_mul_f32_e32 v196, v46, v196                              // 0000000115F8: 0B89892E
	v_mul_f32_e32 v197, v46, v197                              // 0000000115FC: 0B8B8B2E
	v_mul_f32_e32 v198, v46, v198                              // 000000011600: 0B8D8D2E
	v_mul_f32_e32 v199, v46, v199                              // 000000011604: 0B8F8F2E
	s_waitcnt lgkmcnt(0)                                       // 000000011608: BF8CC07F
	v_max3_f32 v48, v64, v65, v48                              // 00000001160C: D1D30030 04C28340
	v_max3_f32 v48, v66, v67, v48                              // 000000011614: D1D30030 04C28742
	v_max3_f32 v48, v68, v69, v48                              // 00000001161C: D1D30030 04C28B44
	v_max3_f32 v48, v70, v71, v48                              // 000000011624: D1D30030 04C28F46
	v_max3_f32 v48, v72, v73, v48                              // 00000001162C: D1D30030 04C29348
	v_max3_f32 v48, v74, v75, v48                              // 000000011634: D1D30030 04C2974A
	v_max3_f32 v48, v76, v77, v48                              // 00000001163C: D1D30030 04C29B4C
	v_max3_f32 v48, v78, v79, v48                              // 000000011644: D1D30030 04C29F4E
	v_mov_b32_e32 v64, 0xff800000                              // 00000001164C: 7E8002FF FF800000
	v_cmp_eq_u32_e64 s[40:41], v64, v13                        // 000000011654: D0CA0028 00021B40
	s_nop 1                                                    // 00000001165C: BF800001
	v_max_f32_e32 v15, v48, v13                                // 000000011660: 161E1B30
	v_mul_f32_e32 v53, s64, v15                                // 000000011664: 0A6A1E40
	v_fma_f32 v144, v144, s64, -v53                            // 000000011668: D1CB0090 84D48190
	v_fma_f32 v145, v145, s64, -v53                            // 000000011670: D1CB0091 84D48191
	v_fma_f32 v146, v146, s64, -v53                            // 000000011678: D1CB0092 84D48192
	v_fma_f32 v147, v147, s64, -v53                            // 000000011680: D1CB0093 84D48193
	v_fma_f32 v148, v148, s64, -v53                            // 000000011688: D1CB0094 84D48194
	v_fma_f32 v149, v149, s64, -v53                            // 000000011690: D1CB0095 84D48195
	v_fma_f32 v150, v150, s64, -v53                            // 000000011698: D1CB0096 84D48196
	v_fma_f32 v151, v151, s64, -v53                            // 0000000116A0: D1CB0097 84D48197
	v_fma_f32 v152, v152, s64, -v53                            // 0000000116A8: D1CB0098 84D48198
	v_fma_f32 v153, v153, s64, -v53                            // 0000000116B0: D1CB0099 84D48199
	v_fma_f32 v154, v154, s64, -v53                            // 0000000116B8: D1CB009A 84D4819A
	v_fma_f32 v155, v155, s64, -v53                            // 0000000116C0: D1CB009B 84D4819B
	v_fma_f32 v156, v156, s64, -v53                            // 0000000116C8: D1CB009C 84D4819C
	v_fma_f32 v157, v157, s64, -v53                            // 0000000116D0: D1CB009D 84D4819D
	v_fma_f32 v158, v158, s64, -v53                            // 0000000116D8: D1CB009E 84D4819E
	v_fma_f32 v159, v159, s64, -v53                            // 0000000116E0: D1CB009F 84D4819F
	v_exp_f32_e32 v144, v144                                   // 0000000116E8: 7F204190
	v_exp_f32_e32 v145, v145                                   // 0000000116EC: 7F224191
	v_exp_f32_e32 v146, v146                                   // 0000000116F0: 7F244192
	v_exp_f32_e32 v147, v147                                   // 0000000116F4: 7F264193
	v_exp_f32_e32 v148, v148                                   // 0000000116F8: 7F284194
	v_exp_f32_e32 v149, v149                                   // 0000000116FC: 7F2A4195
	v_exp_f32_e32 v150, v150                                   // 000000011700: 7F2C4196
	v_exp_f32_e32 v151, v151                                   // 000000011704: 7F2E4197
	v_exp_f32_e32 v152, v152                                   // 000000011708: 7F304198
	v_exp_f32_e32 v153, v153                                   // 00000001170C: 7F324199
	v_exp_f32_e32 v154, v154                                   // 000000011710: 7F34419A
	v_exp_f32_e32 v155, v155                                   // 000000011714: 7F36419B
	v_exp_f32_e32 v156, v156                                   // 000000011718: 7F38419C
	v_exp_f32_e32 v157, v157                                   // 00000001171C: 7F3A419D
	v_exp_f32_e32 v158, v158                                   // 000000011720: 7F3C419E
	v_exp_f32_e32 v159, v159                                   // 000000011724: 7F3E419F
	v_mul_f32_dpp v240, v252, v144 quad_perm:[0,0,0,0] row_mask:0xf bank_mask:0xf// 000000011728: 0BE120FA FF0000FC
	v_mul_f32_dpp v241, v252, v145 quad_perm:[1,1,1,1] row_mask:0xf bank_mask:0xf// 000000011730: 0BE322FA FF0055FC
	v_mul_f32_dpp v242, v252, v146 quad_perm:[2,2,2,2] row_mask:0xf bank_mask:0xf// 000000011738: 0BE524FA FF00AAFC
	v_mul_f32_dpp v243, v252, v147 quad_perm:[3,3,3,3] row_mask:0xf bank_mask:0xf// 000000011740: 0BE726FA FF00FFFC
	v_mul_f32_dpp v244, v253, v148 quad_perm:[0,0,0,0] row_mask:0xf bank_mask:0xf// 000000011748: 0BE928FA FF0000FD
	v_mul_f32_dpp v245, v253, v149 quad_perm:[1,1,1,1] row_mask:0xf bank_mask:0xf// 000000011750: 0BEB2AFA FF0055FD
	v_mul_f32_dpp v246, v253, v150 quad_perm:[2,2,2,2] row_mask:0xf bank_mask:0xf// 000000011758: 0BED2CFA FF00AAFD
	v_mul_f32_dpp v247, v253, v151 quad_perm:[3,3,3,3] row_mask:0xf bank_mask:0xf// 000000011760: 0BEF2EFA FF00FFFD
	v_mul_f32_dpp v248, v254, v152 quad_perm:[0,0,0,0] row_mask:0xf bank_mask:0xf// 000000011768: 0BF130FA FF0000FE
	v_mul_f32_dpp v249, v254, v153 quad_perm:[1,1,1,1] row_mask:0xf bank_mask:0xf// 000000011770: 0BF332FA FF0055FE
	v_mul_f32_dpp v250, v254, v154 quad_perm:[2,2,2,2] row_mask:0xf bank_mask:0xf// 000000011778: 0BF534FA FF00AAFE
	v_mul_f32_dpp v251, v254, v155 quad_perm:[3,3,3,3] row_mask:0xf bank_mask:0xf// 000000011780: 0BF736FA FF00FFFE
	v_mul_f32_dpp v252, v255, v156 quad_perm:[0,0,0,0] row_mask:0xf bank_mask:0xf// 000000011788: 0BF938FA FF0000FF
	v_mul_f32_dpp v253, v255, v157 quad_perm:[1,1,1,1] row_mask:0xf bank_mask:0xf// 000000011790: 0BFB3AFA FF0055FF
	v_mul_f32_dpp v254, v255, v158 quad_perm:[2,2,2,2] row_mask:0xf bank_mask:0xf// 000000011798: 0BFD3CFA FF00AAFF
	v_mul_f32_dpp v255, v255, v159 quad_perm:[3,3,3,3] row_mask:0xf bank_mask:0xf// 0000000117A0: 0BFF3EFA FF00FFFF
	v_mov_b32_e32 v48, 0x358637bd                              // 0000000117A8: 7E6002FF 358637BD
	v_max3_f32 v48, |v240|, |v241|, v48                        // 0000000117B0: D1D30330 04C3E3F0
	v_max3_f32 v48, |v242|, |v243|, v48                        // 0000000117B8: D1D30330 04C3E7F2
	v_max3_f32 v48, |v244|, |v245|, v48                        // 0000000117C0: D1D30330 04C3EBF4
	v_max3_f32 v48, |v246|, |v247|, v48                        // 0000000117C8: D1D30330 04C3EFF6
	v_max3_f32 v48, |v248|, |v249|, v48                        // 0000000117D0: D1D30330 04C3F3F8
	v_max3_f32 v48, |v250|, |v251|, v48                        // 0000000117D8: D1D30330 04C3F7FA
	v_max3_f32 v48, |v252|, |v253|, v48                        // 0000000117E0: D1D30330 04C3FBFC
	v_max3_f32 v48, |v254|, |v255|, v48                        // 0000000117E8: D1D30330 04C3FFFE
	ds_write_b32 v8, v48 offset:20992                          // 0000000117F0: D81A5200 00003008
	v_sub_f32_e32 v51, v13, v15                                // 0000000117F8: 04661F0D
	v_cndmask_b32_e64 v51, v51, 0, s[40:41]                    // 0000000117FC: D1000033 00A10133
	v_mov_b32_e32 v13, v15                                     // 000000011804: 7E1A030F
	v_mul_f32_e32 v51, s64, v51                                // 000000011808: 0A666640
	v_exp_f32_e32 v51, v51                                     // 00000001180C: 7E664133
	s_waitcnt lgkmcnt(0)                                       // 000000011810: BF8CC07F
	s_barrier                                                  // 000000011814: BF8A0000
	ds_read_b32 v64, v7 offset:20992                           // 000000011818: D86C5200 40000007
	ds_read_b32 v65, v7 offset:21056                           // 000000011820: D86C5240 41000007
	ds_read_b32 v66, v7 offset:21120                           // 000000011828: D86C5280 42000007
	ds_read_b32 v67, v7 offset:21184                           // 000000011830: D86C52C0 43000007
	ds_read_b32 v68, v7 offset:21248                           // 000000011838: D86C5300 44000007
	ds_read_b32 v69, v7 offset:21312                           // 000000011840: D86C5340 45000007
	ds_read_b32 v70, v7 offset:21376                           // 000000011848: D86C5380 46000007
	ds_read_b32 v71, v7 offset:21440                           // 000000011850: D86C53C0 47000007
	ds_read_b32 v72, v7 offset:21504                           // 000000011858: D86C5400 48000007
	ds_read_b32 v73, v7 offset:21568                           // 000000011860: D86C5440 49000007
	ds_read_b32 v74, v7 offset:21632                           // 000000011868: D86C5480 4A000007
	ds_read_b32 v75, v7 offset:21696                           // 000000011870: D86C54C0 4B000007
	ds_read_b32 v76, v7 offset:21760                           // 000000011878: D86C5500 4C000007
	ds_read_b32 v77, v7 offset:21824                           // 000000011880: D86C5540 4D000007
	ds_read_b32 v78, v7 offset:21888                           // 000000011888: D86C5580 4E000007
	ds_read_b32 v79, v7 offset:21952                           // 000000011890: D86C55C0 4F000007
	v_mul_f32_e32 v40, v51, v40                                // 000000011898: 0A505133
	v_mov_b32_e32 v15, v144                                    // 00000001189C: 7E1E0390
	v_add_f32_e32 v15, v145, v15                               // 0000000118A0: 021E1F91
	v_add_f32_e32 v15, v146, v15                               // 0000000118A4: 021E1F92
	v_add_f32_e32 v15, v147, v15                               // 0000000118A8: 021E1F93
	v_add_f32_e32 v15, v148, v15                               // 0000000118AC: 021E1F94
	v_add_f32_e32 v15, v149, v15                               // 0000000118B0: 021E1F95
	v_add_f32_e32 v15, v150, v15                               // 0000000118B4: 021E1F96
	v_add_f32_e32 v15, v151, v15                               // 0000000118B8: 021E1F97
	v_add_f32_e32 v15, v152, v15                               // 0000000118BC: 021E1F98
	v_add_f32_e32 v15, v153, v15                               // 0000000118C0: 021E1F99
	v_add_f32_e32 v15, v154, v15                               // 0000000118C4: 021E1F9A
	v_add_f32_e32 v15, v155, v15                               // 0000000118C8: 021E1F9B
	v_add_f32_e32 v15, v156, v15                               // 0000000118CC: 021E1F9C
	v_add_f32_e32 v15, v157, v15                               // 0000000118D0: 021E1F9D
	v_add_f32_e32 v15, v158, v15                               // 0000000118D4: 021E1F9E
	v_add_f32_e32 v15, v159, v15                               // 0000000118D8: 021E1F9F
	v_add_f32_e32 v40, v15, v40                                // 0000000118DC: 0250510F
	s_waitcnt lgkmcnt(0)                                       // 0000000118E0: BF8CC07F
	v_max3_f32 v48, |v64|, |v65|, v48                          // 0000000118E4: D1D30330 04C28340
	v_max3_f32 v48, |v66|, |v67|, v48                          // 0000000118EC: D1D30330 04C28742
	v_max3_f32 v48, |v68|, |v69|, v48                          // 0000000118F4: D1D30330 04C28B44
	v_max3_f32 v48, |v70|, |v71|, v48                          // 0000000118FC: D1D30330 04C28F46
	v_max3_f32 v48, |v72|, |v73|, v48                          // 000000011904: D1D30330 04C29348
	v_max3_f32 v48, |v74|, |v75|, v48                          // 00000001190C: D1D30330 04C2974A
	v_max3_f32 v48, |v76|, |v77|, v48                          // 000000011914: D1D30330 04C29B4C
	v_max3_f32 v48, |v78|, |v79|, v48                          // 00000001191C: D1D30330 04C29F4E
	s_nop 2                                                    // 000000011924: BF800002
	v_rcp_f32_e32 v48, v48                                     // 000000011928: 7E604530
	s_nop 1                                                    // 00000001192C: BF800001
	v_mul_f32_e32 v48, 0x43e00000, v48                         // 000000011930: 0A6060FF 43E00000
	v_mul_f32_e32 v144, v48, v240                              // 000000011938: 0B21E130
	v_mul_f32_e32 v145, v48, v241                              // 00000001193C: 0B23E330
	v_mul_f32_e32 v146, v48, v242                              // 000000011940: 0B25E530
	v_mul_f32_e32 v147, v48, v243                              // 000000011944: 0B27E730
	v_mul_f32_e32 v148, v48, v244                              // 000000011948: 0B29E930
	v_mul_f32_e32 v149, v48, v245                              // 00000001194C: 0B2BEB30
	v_mul_f32_e32 v150, v48, v246                              // 000000011950: 0B2DED30
	v_mul_f32_e32 v151, v48, v247                              // 000000011954: 0B2FEF30
	v_mul_f32_e32 v152, v48, v248                              // 000000011958: 0B31F130
	v_mul_f32_e32 v153, v48, v249                              // 00000001195C: 0B33F330
	v_mul_f32_e32 v154, v48, v250                              // 000000011960: 0B35F530
	v_mul_f32_e32 v155, v48, v251                              // 000000011964: 0B37F730
	v_mul_f32_e32 v156, v48, v252                              // 000000011968: 0B39F930
	v_mul_f32_e32 v157, v48, v253                              // 00000001196C: 0B3BFB30
	v_mul_f32_e32 v158, v48, v254                              // 000000011970: 0B3DFD30
	v_mul_f32_e32 v159, v48, v255                              // 000000011974: 0B3FFF30
	v_cvt_pk_fp8_f32 v144, v144, v145                          // 000000011978: D2A20090 00032390
	v_cvt_pk_fp8_f32 v144, v146, v147 op_sel:[0,0,1]           // 000000011980: D2A24090 00032792
	v_cvt_pk_fp8_f32 v145, v148, v149                          // 000000011988: D2A20091 00032B94
	v_cvt_pk_fp8_f32 v145, v150, v151 op_sel:[0,0,1]           // 000000011990: D2A24091 00032F96
	v_cvt_pk_fp8_f32 v146, v152, v153                          // 000000011998: D2A20092 00033398
	v_cvt_pk_fp8_f32 v146, v154, v155 op_sel:[0,0,1]           // 0000000119A0: D2A24092 0003379A
	v_cvt_pk_fp8_f32 v147, v156, v157                          // 0000000119A8: D2A20093 00033B9C
	v_cvt_pk_fp8_f32 v147, v158, v159 op_sel:[0,0,1]           // 0000000119B0: D2A24093 00033F9E
	ds_write_b32 v10, v144 offset:33280                        // 0000000119B8: D81A8200 0000900A
	ds_write_b32 v10, v145 offset:34304                        // 0000000119C0: D81A8600 0000910A
	ds_write_b32 v10, v146 offset:35328                        // 0000000119C8: D81A8A00 0000920A
	ds_write_b32 v10, v147 offset:36352                        // 0000000119D0: D81A8E00 0000930A
	v_add_f32_e32 v224, v224, v192                             // 0000000119D8: 03C181E0
	v_add_f32_e32 v225, v225, v193                             // 0000000119DC: 03C383E1
	v_add_f32_e32 v226, v226, v194                             // 0000000119E0: 03C585E2
	v_add_f32_e32 v227, v227, v195                             // 0000000119E4: 03C787E3
	v_add_f32_e32 v228, v228, v196                             // 0000000119E8: 03C989E4
	v_add_f32_e32 v229, v229, v197                             // 0000000119EC: 03CB8BE5
	v_add_f32_e32 v230, v230, v198                             // 0000000119F0: 03CD8DE6
	v_add_f32_e32 v231, v231, v199                             // 0000000119F4: 03CF8FE7
	v_rcp_f32_e32 v46, v48                                     // 0000000119F8: 7E5C4530
	s_waitcnt lgkmcnt(0)                                       // 0000000119FC: BF8CC07F
	s_barrier                                                  // 000000011A00: BF8A0000
	ds_read_b64 v[144:145], v9 offset:33280                    // 000000011A04: D8EC8200 90000009
	ds_read_b64 v[146:147], v9 offset:33408                    // 000000011A0C: D8EC8280 92000009
	ds_read_b64 v[148:149], v9 offset:34304                    // 000000011A14: D8EC8600 94000009
	ds_read_b64 v[150:151], v9 offset:34432                    // 000000011A1C: D8EC8680 96000009
	ds_read_b64 v[152:153], v9 offset:35328                    // 000000011A24: D8EC8A00 98000009
	ds_read_b64 v[154:155], v9 offset:35456                    // 000000011A2C: D8EC8A80 9A000009
	ds_read_b64 v[156:157], v9 offset:36352                    // 000000011A34: D8EC8E00 9C000009
	ds_read_b64 v[158:159], v9 offset:36480                    // 000000011A3C: D8EC8E80 9E000009
	s_waitcnt vmcnt(15)                                        // 000000011A44: BF8C0F7F
	v_mfma_f32_16x16x32_fp8_fp8 v[176:179], a[96:97], v[112:113], 0// 000000011A48: D3F300B0 0A02E160
	v_mfma_f32_16x16x32_fp8_fp8 v[176:179], a[98:99], v[114:115], v[176:179]// 000000011A50: D3F300B0 0EC2E562
	buffer_load_dwordx4 a[80:83], v30, s[20:23], 0 offen offset:1024// 000000011A58: E05C1400 8085501E
	v_mfma_f32_16x16x32_fp8_fp8 v[176:179], a[100:101], v[116:117], v[176:179]// 000000011A60: D3F300B0 0EC2E964
	v_mfma_f32_16x16x32_fp8_fp8 v[176:179], a[102:103], v[118:119], v[176:179]// 000000011A68: D3F300B0 0EC2ED66
	v_mfma_f32_16x16x32_fp8_fp8 v[176:179], a[104:105], v[120:121], v[176:179]// 000000011A70: D3F300B0 0EC2F168
	v_mfma_f32_16x16x32_fp8_fp8 v[176:179], a[106:107], v[122:123], v[176:179]// 000000011A78: D3F300B0 0EC2F56A
	buffer_load_dwordx4 a[84:87], v31, s[20:23], 0 offen offset:1024// 000000011A80: E05C1400 8085541F
	v_mfma_f32_16x16x32_fp8_fp8 v[176:179], a[108:109], v[124:125], v[176:179]// 000000011A88: D3F300B0 0EC2F96C
	v_mfma_f32_16x16x32_fp8_fp8 v[176:179], a[110:111], v[126:127], v[176:179]// 000000011A90: D3F300B0 0EC2FD6E
	v_mfma_f32_16x16x32_fp8_fp8 v[180:183], a[112:113], v[112:113], 0// 000000011A98: D3F300B4 0A02E170
	v_mfma_f32_16x16x32_fp8_fp8 v[180:183], a[114:115], v[114:115], v[180:183]// 000000011AA0: D3F300B4 0ED2E572
	buffer_load_dwordx4 a[88:91], v32, s[20:23], 0 offen offset:1024// 000000011AA8: E05C1400 80855820
	v_mfma_f32_16x16x32_fp8_fp8 v[180:183], a[116:117], v[116:117], v[180:183]// 000000011AB0: D3F300B4 0ED2E974
	v_mfma_f32_16x16x32_fp8_fp8 v[180:183], a[118:119], v[118:119], v[180:183]// 000000011AB8: D3F300B4 0ED2ED76
	v_mfma_f32_16x16x32_fp8_fp8 v[180:183], a[120:121], v[120:121], v[180:183]// 000000011AC0: D3F300B4 0ED2F178
	v_mfma_f32_16x16x32_fp8_fp8 v[180:183], a[122:123], v[122:123], v[180:183]// 000000011AC8: D3F300B4 0ED2F57A
	buffer_load_dwordx4 a[92:95], v33, s[20:23], 0 offen offset:1024// 000000011AD0: E05C1400 80855C21
	v_mfma_f32_16x16x32_fp8_fp8 v[180:183], a[124:125], v[124:125], v[180:183]// 000000011AD8: D3F300B4 0ED2F97C
	s_lshr_b32 s57, s70, 4                                     // 000000011AE0: 8F398446
	s_add_u32 s57, 48, s57                                     // 000000011AE4: 803939B0
	v_mfma_f32_16x16x32_fp8_fp8 v[180:183], a[126:127], v[126:127], v[180:183]// 000000011AE8: D3F300B4 0ED2FD7E
	s_cmp_ge_u32 s57, s73                                      // 000000011AF0: BF094939
	s_cselect_b32 s56, 0, s56                                  // 000000011AF4: 85383880
	v_mfma_f32_16x16x32_fp8_fp8 v[184:187], a[96:97], v[128:129], 0// 000000011AF8: D3F300B8 0A030160
	v_mfma_f32_16x16x32_fp8_fp8 v[184:187], a[98:99], v[130:131], v[184:187]// 000000011B00: D3F300B8 0EE30562
	v_mfma_f32_16x16x32_fp8_fp8 v[184:187], a[100:101], v[132:133], v[184:187]// 000000011B08: D3F300B8 0EE30964
	v_mfma_f32_16x16x32_fp8_fp8 v[184:187], a[102:103], v[134:135], v[184:187]// 000000011B10: D3F300B8 0EE30D66
	v_mfma_f32_16x16x32_fp8_fp8 v[184:187], a[104:105], v[136:137], v[184:187]// 000000011B18: D3F300B8 0EE31168
	v_mfma_f32_16x16x32_fp8_fp8 v[184:187], a[106:107], v[138:139], v[184:187]// 000000011B20: D3F300B8 0EE3156A
	v_mfma_f32_16x16x32_fp8_fp8 v[184:187], a[108:109], v[140:141], v[184:187]// 000000011B28: D3F300B8 0EE3196C
	v_mfma_f32_16x16x32_fp8_fp8 v[184:187], a[110:111], v[142:143], v[184:187]// 000000011B30: D3F300B8 0EE31D6E
	v_mfma_f32_16x16x32_fp8_fp8 v[188:191], a[112:113], v[128:129], 0// 000000011B38: D3F300BC 0A030170
	v_mfma_f32_16x16x32_fp8_fp8 v[188:191], a[114:115], v[130:131], v[188:191]// 000000011B40: D3F300BC 0EF30572
	v_mfma_f32_16x16x32_fp8_fp8 v[188:191], a[116:117], v[132:133], v[188:191]// 000000011B48: D3F300BC 0EF30974
	v_mfma_f32_16x16x32_fp8_fp8 v[188:191], a[118:119], v[134:135], v[188:191]// 000000011B50: D3F300BC 0EF30D76
	v_mfma_f32_16x16x32_fp8_fp8 v[188:191], a[120:121], v[136:137], v[188:191]// 000000011B58: D3F300BC 0EF31178
	v_mfma_f32_16x16x32_fp8_fp8 v[188:191], a[122:123], v[138:139], v[188:191]// 000000011B60: D3F300BC 0EF3157A
	v_mfma_f32_16x16x32_fp8_fp8 v[188:191], a[124:125], v[140:141], v[188:191]// 000000011B68: D3F300BC 0EF3197C
	v_mfma_f32_16x16x32_fp8_fp8 v[188:191], a[126:127], v[142:143], v[188:191]// 000000011B70: D3F300BC 0EF31D7E
	v_mfma_f32_16x16x32_fp8_fp8 v[192:195], a[96:97], v[144:145], 0// 000000011B78: D3F300C0 0A032160
	v_mfma_f32_16x16x32_fp8_fp8 v[192:195], a[98:99], v[146:147], v[192:195]// 000000011B80: D3F300C0 0F032562
	v_mfma_f32_16x16x32_fp8_fp8 v[192:195], a[100:101], v[148:149], v[192:195]// 000000011B88: D3F300C0 0F032964
	v_mfma_f32_16x16x32_fp8_fp8 v[192:195], a[102:103], v[150:151], v[192:195]// 000000011B90: D3F300C0 0F032D66
	v_mfma_f32_16x16x32_fp8_fp8 v[192:195], a[104:105], v[152:153], v[192:195]// 000000011B98: D3F300C0 0F033168
	v_mfma_f32_16x16x32_fp8_fp8 v[192:195], a[106:107], v[154:155], v[192:195]// 000000011BA0: D3F300C0 0F03356A
	v_mfma_f32_16x16x32_fp8_fp8 v[192:195], a[108:109], v[156:157], v[192:195]// 000000011BA8: D3F300C0 0F03396C
	v_mfma_f32_16x16x32_fp8_fp8 v[192:195], a[110:111], v[158:159], v[192:195]// 000000011BB0: D3F300C0 0F033D6E
	v_mfma_f32_16x16x32_fp8_fp8 v[196:199], a[112:113], v[144:145], 0// 000000011BB8: D3F300C4 0A032170
	v_mfma_f32_16x16x32_fp8_fp8 v[196:199], a[114:115], v[146:147], v[196:199]// 000000011BC0: D3F300C4 0F132572
	v_mfma_f32_16x16x32_fp8_fp8 v[196:199], a[116:117], v[148:149], v[196:199]// 000000011BC8: D3F300C4 0F132974
	v_mfma_f32_16x16x32_fp8_fp8 v[196:199], a[118:119], v[150:151], v[196:199]// 000000011BD0: D3F300C4 0F132D76
	v_mfma_f32_16x16x32_fp8_fp8 v[196:199], a[120:121], v[152:153], v[196:199]// 000000011BD8: D3F300C4 0F133178
	v_mfma_f32_16x16x32_fp8_fp8 v[196:199], a[122:123], v[154:155], v[196:199]// 000000011BE0: D3F300C4 0F13357A
	v_mfma_f32_16x16x32_fp8_fp8 v[196:199], a[124:125], v[156:157], v[196:199]// 000000011BE8: D3F300C4 0F13397C
	v_mfma_f32_16x16x32_fp8_fp8 v[196:199], a[126:127], v[158:159], v[196:199]// 000000011BF0: D3F300C4 0F133D7E
	v_add_u32_e32 v1, s56, v1                                  // 000000011BF8: 68020238
	s_addk_i32 s70, 0x100                                      // 000000011BFC: B7460100
	s_cmp_lt_i32 s70, s71                                      // 000000011C00: BF044746
	s_cbranch_scc0 label_3E83                                  // 000000011C04: BF840001
	s_branch label_3216                                        // 000000011C08: BF82F393

0000000000011c0c <label_3E83>:
	s_nop 0                                                    // 000000011C0C: BF800000
	s_nop 0                                                    // 000000011C10: BF800000
	s_branch label_4AF3                                        // 000000011C14: BF820C6D

0000000000011c18 <label_3E86>:
	s_waitcnt vmcnt(8) lgkmcnt(0)                              // 000000011C18: BF8C0078
	v_mul_u32_u24_dpp v64, v17, v54 row_newbcast:0 row_mask:0xf bank_mask:0xf// 000000011C1C: 10806CFA FF015011
	v_mul_u32_u24_dpp v65, v17, v54 row_newbcast:4 row_mask:0xf bank_mask:0xf// 000000011C24: 10826CFA FF015411
	v_mul_u32_u24_dpp v66, v17, v54 row_newbcast:8 row_mask:0xf bank_mask:0xf// 000000011C2C: 10846CFA FF015811
	v_mul_u32_u24_dpp v67, v17, v54 row_newbcast:12 row_mask:0xf bank_mask:0xf// 000000011C34: 10866CFA FF015C11
	v_add_u32_e32 v26, v64, v5                                 // 000000011C3C: 68340B40
	v_add_u32_e32 v27, v65, v5                                 // 000000011C40: 68360B41
	v_add_u32_e32 v28, v66, v5                                 // 000000011C44: 68380B42
	v_add_u32_e32 v29, v67, v5                                 // 000000011C48: 683A0B43
	v_mul_u32_u24_dpp v64, v17, v63 quad_perm:[0,0,0,0] row_mask:0xf bank_mask:0xf// 000000011C4C: 10807EFA FF000011
	v_add_u32_e32 v3, v64, v59                                 // 000000011C54: 68067740
	v_mul_u32_u24_dpp v64, v17, v63 quad_perm:[0,0,0,0] row_mask:0xf bank_mask:0xf// 000000011C58: 10807EFA FF000011
	v_add_u32_e32 v56, v64, v60                                // 000000011C60: 68707940
	v_mfma_f32_16x16x32_fp8_fp8 v[112:115], a[0:1], v[80:81], 0// 000000011C64: D3F30070 0A02A100
	buffer_load_dwordx4 a[32:35], v26, s[16:19], 0 offen       // 000000011C6C: E05C1000 8084201A
	v_mfma_f32_16x16x32_fp8_fp8 v[112:115], a[2:3], v[82:83], v[112:115]// 000000011C74: D3F30070 0DC2A502
	v_mfma_f32_16x16x32_fp8_fp8 v[112:115], a[4:5], v[84:85], v[112:115]// 000000011C7C: D3F30070 0DC2A904
	buffer_load_dword v16, v1, s[24:27], 0 offen               // 000000011C84: E0501000 80061001
	v_mfma_f32_16x16x32_fp8_fp8 v[112:115], a[6:7], v[86:87], v[112:115]// 000000011C8C: D3F30070 0DC2AD06
	v_mfma_f32_16x16x32_fp8_fp8 v[116:119], a[8:9], v[80:81], 0// 000000011C94: D3F30074 0A02A108
	buffer_load_dwordx4 a[36:39], v26, s[16:19], 0 offen offset:1024// 000000011C9C: E05C1400 8084241A
	v_mfma_f32_16x16x32_fp8_fp8 v[116:119], a[10:11], v[82:83], v[116:119]// 000000011CA4: D3F30074 0DD2A50A
	v_mfma_f32_16x16x32_fp8_fp8 v[116:119], a[12:13], v[84:85], v[116:119]// 000000011CAC: D3F30074 0DD2A90C
	v_mfma_f32_16x16x32_fp8_fp8 v[116:119], a[14:15], v[86:87], v[116:119]// 000000011CB4: D3F30074 0DD2AD0E
	v_mfma_f32_16x16x32_fp8_fp8 v[120:123], a[16:17], v[80:81], 0// 000000011CBC: D3F30078 0A02A110
	buffer_load_dwordx4 a[40:43], v27, s[16:19], 0 offen       // 000000011CC4: E05C1000 8084281B
	v_mfma_f32_16x16x32_fp8_fp8 v[120:123], a[18:19], v[82:83], v[120:123]// 000000011CCC: D3F30078 0DE2A512
	v_mfma_f32_16x16x32_fp8_fp8 v[120:123], a[20:21], v[84:85], v[120:123]// 000000011CD4: D3F30078 0DE2A914
	v_mfma_f32_16x16x32_fp8_fp8 v[120:123], a[22:23], v[86:87], v[120:123]// 000000011CDC: D3F30078 0DE2AD16
	v_mfma_f32_16x16x32_fp8_fp8 v[124:127], a[24:25], v[80:81], 0// 000000011CE4: D3F3007C 0A02A118
	buffer_load_dwordx4 a[44:47], v27, s[16:19], 0 offen offset:1024// 000000011CEC: E05C1400 80842C1B
	v_mfma_f32_16x16x32_fp8_fp8 v[124:127], a[26:27], v[82:83], v[124:127]// 000000011CF4: D3F3007C 0DF2A51A
	v_mfma_f32_16x16x32_fp8_fp8 v[124:127], a[28:29], v[84:85], v[124:127]// 000000011CFC: D3F3007C 0DF2A91C
	v_mfma_f32_16x16x32_fp8_fp8 v[124:127], a[30:31], v[86:87], v[124:127]// 000000011D04: D3F3007C 0DF2AD1E
	v_mfma_f32_16x16x32_fp8_fp8 v[128:131], a[0:1], v[88:89], 0// 000000011D0C: D3F30080 0A02B100
	v_mfma_f32_16x16x32_fp8_fp8 v[128:131], a[2:3], v[90:91], v[128:131]// 000000011D14: D3F30080 0E02B502
	v_mfma_f32_16x16x32_fp8_fp8 v[128:131], a[4:5], v[92:93], v[128:131]// 000000011D1C: D3F30080 0E02B904
	v_mfma_f32_16x16x32_fp8_fp8 v[128:131], a[6:7], v[94:95], v[128:131]// 000000011D24: D3F30080 0E02BD06
	v_mfma_f32_16x16x32_fp8_fp8 v[132:135], a[8:9], v[88:89], 0// 000000011D2C: D3F30084 0A02B108
	v_mfma_f32_16x16x32_fp8_fp8 v[132:135], a[10:11], v[90:91], v[132:135]// 000000011D34: D3F30084 0E12B50A
	v_mfma_f32_16x16x32_fp8_fp8 v[132:135], a[12:13], v[92:93], v[132:135]// 000000011D3C: D3F30084 0E12B90C
	v_mfma_f32_16x16x32_fp8_fp8 v[132:135], a[14:15], v[94:95], v[132:135]// 000000011D44: D3F30084 0E12BD0E
	v_mfma_f32_16x16x32_fp8_fp8 v[136:139], a[16:17], v[88:89], 0// 000000011D4C: D3F30088 0A02B110
	v_mfma_f32_16x16x32_fp8_fp8 v[136:139], a[18:19], v[90:91], v[136:139]// 000000011D54: D3F30088 0E22B512
	v_mfma_f32_16x16x32_fp8_fp8 v[136:139], a[20:21], v[92:93], v[136:139]// 000000011D5C: D3F30088 0E22B914
	v_mfma_f32_16x16x32_fp8_fp8 v[136:139], a[22:23], v[94:95], v[136:139]// 000000011D64: D3F30088 0E22BD16
	v_mfma_f32_16x16x32_fp8_fp8 v[140:143], a[24:25], v[88:89], 0// 000000011D6C: D3F3008C 0A02B118
	v_mfma_f32_16x16x32_fp8_fp8 v[140:143], a[26:27], v[90:91], v[140:143]// 000000011D74: D3F3008C 0E32B51A
	v_mfma_f32_16x16x32_fp8_fp8 v[140:143], a[28:29], v[92:93], v[140:143]// 000000011D7C: D3F3008C 0E32B91C
	v_mfma_f32_16x16x32_fp8_fp8 v[140:143], a[30:31], v[94:95], v[140:143]// 000000011D84: D3F3008C 0E32BD1E
	v_mfma_f32_16x16x32_fp8_fp8 v[144:147], a[0:1], v[96:97], 0// 000000011D8C: D3F30090 0A02C100
	v_mfma_f32_16x16x32_fp8_fp8 v[144:147], a[2:3], v[98:99], v[144:147]// 000000011D94: D3F30090 0E42C502
	v_mfma_f32_16x16x32_fp8_fp8 v[144:147], a[4:5], v[100:101], v[144:147]// 000000011D9C: D3F30090 0E42C904
	v_mfma_f32_16x16x32_fp8_fp8 v[144:147], a[6:7], v[102:103], v[144:147]// 000000011DA4: D3F30090 0E42CD06
	v_mfma_f32_16x16x32_fp8_fp8 v[148:151], a[8:9], v[96:97], 0// 000000011DAC: D3F30094 0A02C108
	v_mfma_f32_16x16x32_fp8_fp8 v[148:151], a[10:11], v[98:99], v[148:151]// 000000011DB4: D3F30094 0E52C50A
	v_mfma_f32_16x16x32_fp8_fp8 v[148:151], a[12:13], v[100:101], v[148:151]// 000000011DBC: D3F30094 0E52C90C
	v_mfma_f32_16x16x32_fp8_fp8 v[148:151], a[14:15], v[102:103], v[148:151]// 000000011DC4: D3F30094 0E52CD0E
	v_mfma_f32_16x16x32_fp8_fp8 v[152:155], a[16:17], v[96:97], 0// 000000011DCC: D3F30098 0A02C110
	v_mfma_f32_16x16x32_fp8_fp8 v[152:155], a[18:19], v[98:99], v[152:155]// 000000011DD4: D3F30098 0E62C512
	v_mfma_f32_16x16x32_fp8_fp8 v[152:155], a[20:21], v[100:101], v[152:155]// 000000011DDC: D3F30098 0E62C914
	v_mfma_f32_16x16x32_fp8_fp8 v[152:155], a[22:23], v[102:103], v[152:155]// 000000011DE4: D3F30098 0E62CD16
	v_mfma_f32_16x16x32_fp8_fp8 v[156:159], a[24:25], v[96:97], 0// 000000011DEC: D3F3009C 0A02C118
	v_mfma_f32_16x16x32_fp8_fp8 v[156:159], a[26:27], v[98:99], v[156:159]// 000000011DF4: D3F3009C 0E72C51A
	v_mfma_f32_16x16x32_fp8_fp8 v[156:159], a[28:29], v[100:101], v[156:159]// 000000011DFC: D3F3009C 0E72C91C
	v_mfma_f32_16x16x32_fp8_fp8 v[156:159], a[30:31], v[102:103], v[156:159]// 000000011E04: D3F3009C 0E72CD1E
	buffer_load_dword v43, v3, s[32:35], 0 offen               // 000000011E0C: E0501000 80082B03
	v_mov_b32_dpp v64, v42 row_shr:4 row_mask:0xf bank_mask:0xf// 000000011E14: 7E8002FA FF01142A
	v_mov_b32_dpp v65, v42 row_shl:4 row_mask:0xf bank_mask:0xf// 000000011E1C: 7E8202FA FF01042A
	v_cndmask_b32_e64 v248, v42, v64, s[44:45]                 // 000000011E24: D10000F8 00B2812A
	v_cndmask_b32_e64 v249, v65, v42, s[44:45]                 // 000000011E2C: D10000F9 00B25541
	v_mov_b32_dpp v64, v248 row_shr:8 row_mask:0xf bank_mask:0xf// 000000011E34: 7E8002FA FF0118F8
	v_mov_b32_dpp v65, v248 row_shl:8 row_mask:0xf bank_mask:0xf// 000000011E3C: 7E8202FA FF0108F8
	v_mov_b32_dpp v66, v249 row_shr:8 row_mask:0xf bank_mask:0xf// 000000011E44: 7E8402FA FF0118F9
	v_mov_b32_dpp v67, v249 row_shl:8 row_mask:0xf bank_mask:0xf// 000000011E4C: 7E8602FA FF0108F9
	v_mov_b32_e32 v68, v248                                    // 000000011E54: 7E8803F8
	v_mov_b32_e32 v69, v249                                    // 000000011E58: 7E8A03F9
	v_cndmask_b32_e64 v248, v68, v64, s[42:43]                 // 000000011E5C: D10000F8 00AA8144
	v_cndmask_b32_e64 v250, v68, v65, s[78:79]                 // 000000011E64: D10000FA 013A8344
	v_cndmask_b32_e64 v249, v69, v66, s[42:43]                 // 000000011E6C: D10000F9 00AA8545
	v_cndmask_b32_e64 v251, v69, v67, s[78:79]                 // 000000011E74: D10000FB 013A8745
	v_mov_b32_dpp v64, v57 row_shr:4 row_mask:0xf bank_mask:0xf// 000000011E7C: 7E8002FA FF011439
	v_mov_b32_dpp v65, v57 row_shl:4 row_mask:0xf bank_mask:0xf// 000000011E84: 7E8202FA FF010439
	v_cndmask_b32_e64 v252, v57, v64, s[44:45]                 // 000000011E8C: D10000FC 00B28139
	v_cndmask_b32_e64 v253, v65, v57, s[44:45]                 // 000000011E94: D10000FD 00B27341
	v_mov_b32_dpp v64, v252 row_shr:8 row_mask:0xf bank_mask:0xf// 000000011E9C: 7E8002FA FF0118FC
	v_mov_b32_dpp v65, v252 row_shl:8 row_mask:0xf bank_mask:0xf// 000000011EA4: 7E8202FA FF0108FC
	v_mov_b32_dpp v66, v253 row_shr:8 row_mask:0xf bank_mask:0xf// 000000011EAC: 7E8402FA FF0118FD
	v_mov_b32_dpp v67, v253 row_shl:8 row_mask:0xf bank_mask:0xf// 000000011EB4: 7E8602FA FF0108FD
	v_mov_b32_e32 v68, v252                                    // 000000011EBC: 7E8803FC
	v_mov_b32_e32 v69, v253                                    // 000000011EC0: 7E8A03FD
	v_cndmask_b32_e64 v252, v68, v64, s[42:43]                 // 000000011EC4: D10000FC 00AA8144
	v_cndmask_b32_e64 v254, v68, v65, s[78:79]                 // 000000011ECC: D10000FE 013A8344
	v_cndmask_b32_e64 v253, v69, v66, s[42:43]                 // 000000011ED4: D10000FD 00AA8545
	v_cndmask_b32_e64 v255, v69, v67, s[78:79]                 // 000000011EDC: D10000FF 013A8745
	buffer_load_dword v58, v56, s[36:39], 0 offen              // 000000011EE4: E0501000 80093A38
	v_mul_f32_e32 v112, v18, v112                              // 000000011EEC: 0AE0E112
	v_mul_f32_e32 v113, v18, v113                              // 000000011EF0: 0AE2E312
	v_mul_f32_e32 v114, v18, v114                              // 000000011EF4: 0AE4E512
	v_mul_f32_e32 v115, v18, v115                              // 000000011EF8: 0AE6E712
	v_mul_f32_e32 v116, v18, v116                              // 000000011EFC: 0AE8E912
	v_mul_f32_e32 v117, v18, v117                              // 000000011F00: 0AEAEB12
	v_mul_f32_e32 v118, v18, v118                              // 000000011F04: 0AECED12
	v_mul_f32_e32 v119, v18, v119                              // 000000011F08: 0AEEEF12
	v_mul_f32_e32 v120, v18, v120                              // 000000011F0C: 0AF0F112
	v_mul_f32_e32 v121, v18, v121                              // 000000011F10: 0AF2F312
	v_mul_f32_e32 v122, v18, v122                              // 000000011F14: 0AF4F512
	v_mul_f32_e32 v123, v18, v123                              // 000000011F18: 0AF6F712
	v_mul_f32_e32 v124, v18, v124                              // 000000011F1C: 0AF8F912
	v_mul_f32_e32 v125, v18, v125                              // 000000011F20: 0AFAFB12
	v_mul_f32_e32 v126, v18, v126                              // 000000011F24: 0AFCFD12
	v_mul_f32_e32 v127, v18, v127                              // 000000011F28: 0AFEFF12
	buffer_load_dwordx4 a[48:51], v28, s[16:19], 0 offen       // 000000011F2C: E05C1000 8084301C
	v_mul_f32_dpp v112, v248, v112 quad_perm:[0,0,0,0] row_mask:0xf bank_mask:0xf// 000000011F34: 0AE0E0FA FF0000F8
	v_mul_f32_dpp v113, v248, v113 quad_perm:[1,1,1,1] row_mask:0xf bank_mask:0xf// 000000011F3C: 0AE2E2FA FF0055F8
	v_mul_f32_dpp v114, v248, v114 quad_perm:[2,2,2,2] row_mask:0xf bank_mask:0xf// 000000011F44: 0AE4E4FA FF00AAF8
	v_mul_f32_dpp v115, v248, v115 quad_perm:[3,3,3,3] row_mask:0xf bank_mask:0xf// 000000011F4C: 0AE6E6FA FF00FFF8
	v_mul_f32_dpp v116, v249, v116 quad_perm:[0,0,0,0] row_mask:0xf bank_mask:0xf// 000000011F54: 0AE8E8FA FF0000F9
	v_mul_f32_dpp v117, v249, v117 quad_perm:[1,1,1,1] row_mask:0xf bank_mask:0xf// 000000011F5C: 0AEAEAFA FF0055F9
	v_mul_f32_dpp v118, v249, v118 quad_perm:[2,2,2,2] row_mask:0xf bank_mask:0xf// 000000011F64: 0AECECFA FF00AAF9
	v_mul_f32_dpp v119, v249, v119 quad_perm:[3,3,3,3] row_mask:0xf bank_mask:0xf// 000000011F6C: 0AEEEEFA FF00FFF9
	v_mul_f32_dpp v120, v250, v120 quad_perm:[0,0,0,0] row_mask:0xf bank_mask:0xf// 000000011F74: 0AF0F0FA FF0000FA
	v_mul_f32_dpp v121, v250, v121 quad_perm:[1,1,1,1] row_mask:0xf bank_mask:0xf// 000000011F7C: 0AF2F2FA FF0055FA
	v_mul_f32_dpp v122, v250, v122 quad_perm:[2,2,2,2] row_mask:0xf bank_mask:0xf// 000000011F84: 0AF4F4FA FF00AAFA
	v_mul_f32_dpp v123, v250, v123 quad_perm:[3,3,3,3] row_mask:0xf bank_mask:0xf// 000000011F8C: 0AF6F6FA FF00FFFA
	v_mul_f32_dpp v124, v251, v124 quad_perm:[0,0,0,0] row_mask:0xf bank_mask:0xf// 000000011F94: 0AF8F8FA FF0000FB
	v_mul_f32_dpp v125, v251, v125 quad_perm:[1,1,1,1] row_mask:0xf bank_mask:0xf// 000000011F9C: 0AFAFAFA FF0055FB
	v_mul_f32_dpp v126, v251, v126 quad_perm:[2,2,2,2] row_mask:0xf bank_mask:0xf// 000000011FA4: 0AFCFCFA FF00AAFB
	v_mul_f32_dpp v127, v251, v127 quad_perm:[3,3,3,3] row_mask:0xf bank_mask:0xf// 000000011FAC: 0AFEFEFA FF00FFFB
	buffer_load_dwordx4 a[52:55], v28, s[16:19], 0 offen offset:1024// 000000011FB4: E05C1400 8084341C
	v_mov_b32_e32 v48, v112                                    // 000000011FBC: 7E600370
	v_max3_f32 v48, v112, v113, v48                            // 000000011FC0: D1D30030 04C2E370
	v_max3_f32 v48, v114, v115, v48                            // 000000011FC8: D1D30030 04C2E772
	v_max3_f32 v48, v116, v117, v48                            // 000000011FD0: D1D30030 04C2EB74
	v_max3_f32 v48, v118, v119, v48                            // 000000011FD8: D1D30030 04C2EF76
	v_max3_f32 v48, v120, v121, v48                            // 000000011FE0: D1D30030 04C2F378
	v_max3_f32 v48, v122, v123, v48                            // 000000011FE8: D1D30030 04C2F77A
	v_max3_f32 v48, v124, v125, v48                            // 000000011FF0: D1D30030 04C2FB7C
	v_max3_f32 v48, v126, v127, v48                            // 000000011FF8: D1D30030 04C2FF7E
	ds_write_b32 v8, v48 offset:16896                          // 000000012000: D81A4200 00003008
	buffer_load_dwordx4 a[56:59], v29, s[16:19], 0 offen       // 000000012008: E05C1000 8084381D
	v_mul_u32_u24_dpp v64, v17, v54 row_newbcast:1 row_mask:0xf bank_mask:0xf// 000000012010: 10806CFA FF015111
	v_mul_u32_u24_dpp v65, v17, v54 row_newbcast:5 row_mask:0xf bank_mask:0xf// 000000012018: 10826CFA FF015511
	v_mul_u32_u24_dpp v66, v17, v54 row_newbcast:9 row_mask:0xf bank_mask:0xf// 000000012020: 10846CFA FF015911
	v_mul_u32_u24_dpp v67, v17, v54 row_newbcast:13 row_mask:0xf bank_mask:0xf// 000000012028: 10866CFA FF015D11
	v_add_u32_e32 v34, v64, v6                                 // 000000012030: 68440D40
	v_add_u32_e32 v35, v65, v6                                 // 000000012034: 68460D41
	v_add_u32_e32 v36, v66, v6                                 // 000000012038: 68480D42
	v_add_u32_e32 v37, v67, v6                                 // 00000001203C: 684A0D43
	v_mul_f32_e32 v208, v49, v208                              // 000000012040: 0BA1A131
	v_mul_f32_e32 v209, v49, v209                              // 000000012044: 0BA3A331
	v_mul_f32_e32 v210, v49, v210                              // 000000012048: 0BA5A531
	v_mul_f32_e32 v211, v49, v211                              // 00000001204C: 0BA7A731
	v_mul_f32_e32 v212, v49, v212                              // 000000012050: 0BA9A931
	v_mul_f32_e32 v213, v49, v213                              // 000000012054: 0BABAB31
	v_mul_f32_e32 v214, v49, v214                              // 000000012058: 0BADAD31
	v_mul_f32_e32 v215, v49, v215                              // 00000001205C: 0BAFAF31
	s_waitcnt lgkmcnt(0)                                       // 000000012060: BF8CC07F
	s_barrier                                                  // 000000012064: BF8A0000
	ds_read_b32 v64, v7 offset:16896                           // 000000012068: D86C4200 40000007
	ds_read_b32 v65, v7 offset:16960                           // 000000012070: D86C4240 41000007
	ds_read_b32 v66, v7 offset:17024                           // 000000012078: D86C4280 42000007
	ds_read_b32 v67, v7 offset:17088                           // 000000012080: D86C42C0 43000007
	ds_read_b32 v68, v7 offset:17152                           // 000000012088: D86C4300 44000007
	ds_read_b32 v69, v7 offset:17216                           // 000000012090: D86C4340 45000007
	ds_read_b32 v70, v7 offset:17280                           // 000000012098: D86C4380 46000007
	ds_read_b32 v71, v7 offset:17344                           // 0000000120A0: D86C43C0 47000007
	ds_read_b32 v72, v7 offset:17408                           // 0000000120A8: D86C4400 48000007
	ds_read_b32 v73, v7 offset:17472                           // 0000000120B0: D86C4440 49000007
	ds_read_b32 v74, v7 offset:17536                           // 0000000120B8: D86C4480 4A000007
	ds_read_b32 v75, v7 offset:17600                           // 0000000120C0: D86C44C0 4B000007
	ds_read_b32 v76, v7 offset:17664                           // 0000000120C8: D86C4500 4C000007
	ds_read_b32 v77, v7 offset:17728                           // 0000000120D0: D86C4540 4D000007
	ds_read_b32 v78, v7 offset:17792                           // 0000000120D8: D86C4580 4E000007
	ds_read_b32 v79, v7 offset:17856                           // 0000000120E0: D86C45C0 4F000007
	buffer_load_dwordx4 a[60:63], v29, s[16:19], 0 offen offset:1024// 0000000120E8: E05C1400 80843C1D
	v_mul_f32_e32 v176, v44, v176                              // 0000000120F0: 0B61612C
	v_mul_f32_e32 v177, v44, v177                              // 0000000120F4: 0B63632C
	v_mul_f32_e32 v178, v44, v178                              // 0000000120F8: 0B65652C
	v_mul_f32_e32 v179, v44, v179                              // 0000000120FC: 0B67672C
	v_mul_f32_e32 v180, v44, v180                              // 000000012100: 0B69692C
	v_mul_f32_e32 v181, v44, v181                              // 000000012104: 0B6B6B2C
	v_mul_f32_e32 v182, v44, v182                              // 000000012108: 0B6D6D2C
	v_mul_f32_e32 v183, v44, v183                              // 00000001210C: 0B6F6F2C
	s_waitcnt lgkmcnt(0)                                       // 000000012110: BF8CC07F
	v_max3_f32 v48, v64, v65, v48                              // 000000012114: D1D30030 04C28340
	v_max3_f32 v48, v66, v67, v48                              // 00000001211C: D1D30030 04C28742
	v_max3_f32 v48, v68, v69, v48                              // 000000012124: D1D30030 04C28B44
	v_max3_f32 v48, v70, v71, v48                              // 00000001212C: D1D30030 04C28F46
	v_max3_f32 v48, v72, v73, v48                              // 000000012134: D1D30030 04C29348
	v_max3_f32 v48, v74, v75, v48                              // 00000001213C: D1D30030 04C2974A
	v_max3_f32 v48, v76, v77, v48                              // 000000012144: D1D30030 04C29B4C
	v_max3_f32 v48, v78, v79, v48                              // 00000001214C: D1D30030 04C29F4E
	buffer_load_dwordx4 a[96:99], v34, s[20:23], 0 offen       // 000000012154: E05C1000 80856022
	v_mov_b32_e32 v64, 0xff800000                              // 00000001215C: 7E8002FF FF800000
	v_cmp_eq_u32_e64 s[40:41], v64, v11                        // 000000012164: D0CA0028 00021740
	s_nop 1                                                    // 00000001216C: BF800001
	v_max_f32_e32 v15, v48, v11                                // 000000012170: 161E1730
	v_mul_f32_e32 v53, s64, v15                                // 000000012174: 0A6A1E40
	v_fma_f32 v112, v112, s64, -v53                            // 000000012178: D1CB0070 84D48170
	v_fma_f32 v113, v113, s64, -v53                            // 000000012180: D1CB0071 84D48171
	v_fma_f32 v114, v114, s64, -v53                            // 000000012188: D1CB0072 84D48172
	v_fma_f32 v115, v115, s64, -v53                            // 000000012190: D1CB0073 84D48173
	v_fma_f32 v116, v116, s64, -v53                            // 000000012198: D1CB0074 84D48174
	v_fma_f32 v117, v117, s64, -v53                            // 0000000121A0: D1CB0075 84D48175
	v_fma_f32 v118, v118, s64, -v53                            // 0000000121A8: D1CB0076 84D48176
	v_fma_f32 v119, v119, s64, -v53                            // 0000000121B0: D1CB0077 84D48177
	v_fma_f32 v120, v120, s64, -v53                            // 0000000121B8: D1CB0078 84D48178
	v_fma_f32 v121, v121, s64, -v53                            // 0000000121C0: D1CB0079 84D48179
	v_fma_f32 v122, v122, s64, -v53                            // 0000000121C8: D1CB007A 84D4817A
	v_fma_f32 v123, v123, s64, -v53                            // 0000000121D0: D1CB007B 84D4817B
	v_fma_f32 v124, v124, s64, -v53                            // 0000000121D8: D1CB007C 84D4817C
	v_fma_f32 v125, v125, s64, -v53                            // 0000000121E0: D1CB007D 84D4817D
	v_fma_f32 v126, v126, s64, -v53                            // 0000000121E8: D1CB007E 84D4817E
	v_fma_f32 v127, v127, s64, -v53                            // 0000000121F0: D1CB007F 84D4817F
	buffer_load_dwordx4 a[100:103], v35, s[20:23], 0 offen     // 0000000121F8: E05C1000 80856423
	v_exp_f32_e32 v112, v112                                   // 000000012200: 7EE04170
	v_exp_f32_e32 v113, v113                                   // 000000012204: 7EE24171
	v_exp_f32_e32 v114, v114                                   // 000000012208: 7EE44172
	v_exp_f32_e32 v115, v115                                   // 00000001220C: 7EE64173
	v_exp_f32_e32 v116, v116                                   // 000000012210: 7EE84174
	v_exp_f32_e32 v117, v117                                   // 000000012214: 7EEA4175
	v_exp_f32_e32 v118, v118                                   // 000000012218: 7EEC4176
	v_exp_f32_e32 v119, v119                                   // 00000001221C: 7EEE4177
	v_exp_f32_e32 v120, v120                                   // 000000012220: 7EF04178
	v_exp_f32_e32 v121, v121                                   // 000000012224: 7EF24179
	v_exp_f32_e32 v122, v122                                   // 000000012228: 7EF4417A
	v_exp_f32_e32 v123, v123                                   // 00000001222C: 7EF6417B
	v_exp_f32_e32 v124, v124                                   // 000000012230: 7EF8417C
	v_exp_f32_e32 v125, v125                                   // 000000012234: 7EFA417D
	v_exp_f32_e32 v126, v126                                   // 000000012238: 7EFC417E
	v_exp_f32_e32 v127, v127                                   // 00000001223C: 7EFE417F
	buffer_load_dwordx4 a[104:107], v36, s[20:23], 0 offen     // 000000012240: E05C1000 80856824
	v_mul_f32_dpp v240, v252, v112 quad_perm:[0,0,0,0] row_mask:0xf bank_mask:0xf// 000000012248: 0BE0E0FA FF0000FC
	v_mul_f32_dpp v241, v252, v113 quad_perm:[1,1,1,1] row_mask:0xf bank_mask:0xf// 000000012250: 0BE2E2FA FF0055FC
	v_mul_f32_dpp v242, v252, v114 quad_perm:[2,2,2,2] row_mask:0xf bank_mask:0xf// 000000012258: 0BE4E4FA FF00AAFC
	v_mul_f32_dpp v243, v252, v115 quad_perm:[3,3,3,3] row_mask:0xf bank_mask:0xf// 000000012260: 0BE6E6FA FF00FFFC
	v_mul_f32_dpp v244, v253, v116 quad_perm:[0,0,0,0] row_mask:0xf bank_mask:0xf// 000000012268: 0BE8E8FA FF0000FD
	v_mul_f32_dpp v245, v253, v117 quad_perm:[1,1,1,1] row_mask:0xf bank_mask:0xf// 000000012270: 0BEAEAFA FF0055FD
	v_mul_f32_dpp v246, v253, v118 quad_perm:[2,2,2,2] row_mask:0xf bank_mask:0xf// 000000012278: 0BECECFA FF00AAFD
	v_mul_f32_dpp v247, v253, v119 quad_perm:[3,3,3,3] row_mask:0xf bank_mask:0xf// 000000012280: 0BEEEEFA FF00FFFD
	v_mul_f32_dpp v248, v254, v120 quad_perm:[0,0,0,0] row_mask:0xf bank_mask:0xf// 000000012288: 0BF0F0FA FF0000FE
	v_mul_f32_dpp v249, v254, v121 quad_perm:[1,1,1,1] row_mask:0xf bank_mask:0xf// 000000012290: 0BF2F2FA FF0055FE
	v_mul_f32_dpp v250, v254, v122 quad_perm:[2,2,2,2] row_mask:0xf bank_mask:0xf// 000000012298: 0BF4F4FA FF00AAFE
	v_mul_f32_dpp v251, v254, v123 quad_perm:[3,3,3,3] row_mask:0xf bank_mask:0xf// 0000000122A0: 0BF6F6FA FF00FFFE
	v_mul_f32_dpp v252, v255, v124 quad_perm:[0,0,0,0] row_mask:0xf bank_mask:0xf// 0000000122A8: 0BF8F8FA FF0000FF
	v_mul_f32_dpp v253, v255, v125 quad_perm:[1,1,1,1] row_mask:0xf bank_mask:0xf// 0000000122B0: 0BFAFAFA FF0055FF
	v_mul_f32_dpp v254, v255, v126 quad_perm:[2,2,2,2] row_mask:0xf bank_mask:0xf// 0000000122B8: 0BFCFCFA FF00AAFF
	v_mul_f32_dpp v255, v255, v127 quad_perm:[3,3,3,3] row_mask:0xf bank_mask:0xf// 0000000122C0: 0BFEFEFA FF00FFFF
	v_mov_b32_e32 v48, 0x358637bd                              // 0000000122C8: 7E6002FF 358637BD
	v_max3_f32 v48, |v240|, |v241|, v48                        // 0000000122D0: D1D30330 04C3E3F0
	v_max3_f32 v48, |v242|, |v243|, v48                        // 0000000122D8: D1D30330 04C3E7F2
	v_max3_f32 v48, |v244|, |v245|, v48                        // 0000000122E0: D1D30330 04C3EBF4
	v_max3_f32 v48, |v246|, |v247|, v48                        // 0000000122E8: D1D30330 04C3EFF6
	v_max3_f32 v48, |v248|, |v249|, v48                        // 0000000122F0: D1D30330 04C3F3F8
	v_max3_f32 v48, |v250|, |v251|, v48                        // 0000000122F8: D1D30330 04C3F7FA
	v_max3_f32 v48, |v252|, |v253|, v48                        // 000000012300: D1D30330 04C3FBFC
	v_max3_f32 v48, |v254|, |v255|, v48                        // 000000012308: D1D30330 04C3FFFE
	buffer_load_dwordx4 a[108:111], v37, s[20:23], 0 offen     // 000000012310: E05C1000 80856C25
	ds_write_b32 v8, v48 offset:20992                          // 000000012318: D81A5200 00003008
	v_sub_f32_e32 v49, v11, v15                                // 000000012320: 04621F0B
	v_cndmask_b32_e64 v49, v49, 0, s[40:41]                    // 000000012324: D1000031 00A10131
	v_mov_b32_e32 v11, v15                                     // 00000001232C: 7E16030F
	v_mul_f32_e32 v49, s64, v49                                // 000000012330: 0A626240
	v_exp_f32_e32 v49, v49                                     // 000000012334: 7E624131
	s_waitcnt lgkmcnt(0)                                       // 000000012338: BF8CC07F
	s_barrier                                                  // 00000001233C: BF8A0000
	ds_read_b32 v64, v7 offset:20992                           // 000000012340: D86C5200 40000007
	ds_read_b32 v65, v7 offset:21056                           // 000000012348: D86C5240 41000007
	ds_read_b32 v66, v7 offset:21120                           // 000000012350: D86C5280 42000007
	ds_read_b32 v67, v7 offset:21184                           // 000000012358: D86C52C0 43000007
	ds_read_b32 v68, v7 offset:21248                           // 000000012360: D86C5300 44000007
	ds_read_b32 v69, v7 offset:21312                           // 000000012368: D86C5340 45000007
	ds_read_b32 v70, v7 offset:21376                           // 000000012370: D86C5380 46000007
	ds_read_b32 v71, v7 offset:21440                           // 000000012378: D86C53C0 47000007
	ds_read_b32 v72, v7 offset:21504                           // 000000012380: D86C5400 48000007
	ds_read_b32 v73, v7 offset:21568                           // 000000012388: D86C5440 49000007
	ds_read_b32 v74, v7 offset:21632                           // 000000012390: D86C5480 4A000007
	ds_read_b32 v75, v7 offset:21696                           // 000000012398: D86C54C0 4B000007
	ds_read_b32 v76, v7 offset:21760                           // 0000000123A0: D86C5500 4C000007
	ds_read_b32 v77, v7 offset:21824                           // 0000000123A8: D86C5540 4D000007
	ds_read_b32 v78, v7 offset:21888                           // 0000000123B0: D86C5580 4E000007
	ds_read_b32 v79, v7 offset:21952                           // 0000000123B8: D86C55C0 4F000007
	v_mul_f32_e32 v38, v49, v38                                // 0000000123C0: 0A4C4D31
	v_mov_b32_e32 v15, v112                                    // 0000000123C4: 7E1E0370
	v_add_f32_e32 v15, v113, v15                               // 0000000123C8: 021E1F71
	v_add_f32_e32 v15, v114, v15                               // 0000000123CC: 021E1F72
	v_add_f32_e32 v15, v115, v15                               // 0000000123D0: 021E1F73
	v_add_f32_e32 v15, v116, v15                               // 0000000123D4: 021E1F74
	v_add_f32_e32 v15, v117, v15                               // 0000000123D8: 021E1F75
	v_add_f32_e32 v15, v118, v15                               // 0000000123DC: 021E1F76
	v_add_f32_e32 v15, v119, v15                               // 0000000123E0: 021E1F77
	v_add_f32_e32 v15, v120, v15                               // 0000000123E4: 021E1F78
	v_add_f32_e32 v15, v121, v15                               // 0000000123E8: 021E1F79
	v_add_f32_e32 v15, v122, v15                               // 0000000123EC: 021E1F7A
	v_add_f32_e32 v15, v123, v15                               // 0000000123F0: 021E1F7B
	v_add_f32_e32 v15, v124, v15                               // 0000000123F4: 021E1F7C
	v_add_f32_e32 v15, v125, v15                               // 0000000123F8: 021E1F7D
	v_add_f32_e32 v15, v126, v15                               // 0000000123FC: 021E1F7E
	v_add_f32_e32 v15, v127, v15                               // 000000012400: 021E1F7F
	v_add_f32_e32 v38, v15, v38                                // 000000012404: 024C4D0F
	s_waitcnt lgkmcnt(0)                                       // 000000012408: BF8CC07F
	v_max3_f32 v48, |v64|, |v65|, v48                          // 00000001240C: D1D30330 04C28340
	v_max3_f32 v48, |v66|, |v67|, v48                          // 000000012414: D1D30330 04C28742
	v_max3_f32 v48, |v68|, |v69|, v48                          // 00000001241C: D1D30330 04C28B44
	v_max3_f32 v48, |v70|, |v71|, v48                          // 000000012424: D1D30330 04C28F46
	v_max3_f32 v48, |v72|, |v73|, v48                          // 00000001242C: D1D30330 04C29348
	v_max3_f32 v48, |v74|, |v75|, v48                          // 000000012434: D1D30330 04C2974A
	v_max3_f32 v48, |v76|, |v77|, v48                          // 00000001243C: D1D30330 04C29B4C
	v_max3_f32 v48, |v78|, |v79|, v48                          // 000000012444: D1D30330 04C29F4E
	s_nop 2                                                    // 00000001244C: BF800002
	v_rcp_f32_e32 v48, v48                                     // 000000012450: 7E604530
	s_nop 1                                                    // 000000012454: BF800001
	v_mul_f32_e32 v48, 0x43e00000, v48                         // 000000012458: 0A6060FF 43E00000
	v_mul_f32_e32 v112, v48, v240                              // 000000012460: 0AE1E130
	v_mul_f32_e32 v113, v48, v241                              // 000000012464: 0AE3E330
	v_mul_f32_e32 v114, v48, v242                              // 000000012468: 0AE5E530
	v_mul_f32_e32 v115, v48, v243                              // 00000001246C: 0AE7E730
	v_mul_f32_e32 v116, v48, v244                              // 000000012470: 0AE9E930
	v_mul_f32_e32 v117, v48, v245                              // 000000012474: 0AEBEB30
	v_mul_f32_e32 v118, v48, v246                              // 000000012478: 0AEDED30
	v_mul_f32_e32 v119, v48, v247                              // 00000001247C: 0AEFEF30
	v_mul_f32_e32 v120, v48, v248                              // 000000012480: 0AF1F130
	v_mul_f32_e32 v121, v48, v249                              // 000000012484: 0AF3F330
	v_mul_f32_e32 v122, v48, v250                              // 000000012488: 0AF5F530
	v_mul_f32_e32 v123, v48, v251                              // 00000001248C: 0AF7F730
	v_mul_f32_e32 v124, v48, v252                              // 000000012490: 0AF9F930
	v_mul_f32_e32 v125, v48, v253                              // 000000012494: 0AFBFB30
	v_mul_f32_e32 v126, v48, v254                              // 000000012498: 0AFDFD30
	v_mul_f32_e32 v127, v48, v255                              // 00000001249C: 0AFFFF30
	v_cvt_pk_fp8_f32 v112, v112, v113                          // 0000000124A0: D2A20070 0002E370
	v_cvt_pk_fp8_f32 v112, v114, v115 op_sel:[0,0,1]           // 0000000124A8: D2A24070 0002E772
	v_cvt_pk_fp8_f32 v113, v116, v117                          // 0000000124B0: D2A20071 0002EB74
	v_cvt_pk_fp8_f32 v113, v118, v119 op_sel:[0,0,1]           // 0000000124B8: D2A24071 0002EF76
	v_cvt_pk_fp8_f32 v114, v120, v121                          // 0000000124C0: D2A20072 0002F378
	v_cvt_pk_fp8_f32 v114, v122, v123 op_sel:[0,0,1]           // 0000000124C8: D2A24072 0002F77A
	v_cvt_pk_fp8_f32 v115, v124, v125                          // 0000000124D0: D2A20073 0002FB7C
	v_cvt_pk_fp8_f32 v115, v126, v127 op_sel:[0,0,1]           // 0000000124D8: D2A24073 0002FF7E
	ds_write_b32 v10, v112 offset:25088                        // 0000000124E0: D81A6200 0000700A
	ds_write_b32 v10, v113 offset:26112                        // 0000000124E8: D81A6600 0000710A
	ds_write_b32 v10, v114 offset:27136                        // 0000000124F0: D81A6A00 0000720A
	ds_write_b32 v10, v115 offset:28160                        // 0000000124F8: D81A6E00 0000730A
	v_add_f32_e32 v208, v208, v176                             // 000000012500: 03A161D0
	v_add_f32_e32 v209, v209, v177                             // 000000012504: 03A363D1
	v_add_f32_e32 v210, v210, v178                             // 000000012508: 03A565D2
	v_add_f32_e32 v211, v211, v179                             // 00000001250C: 03A767D3
	v_add_f32_e32 v212, v212, v180                             // 000000012510: 03A969D4
	v_add_f32_e32 v213, v213, v181                             // 000000012514: 03AB6BD5
	v_add_f32_e32 v214, v214, v182                             // 000000012518: 03AD6DD6
	v_add_f32_e32 v215, v215, v183                             // 00000001251C: 03AF6FD7
	v_rcp_f32_e32 v44, v48                                     // 000000012520: 7E584530
	s_waitcnt lgkmcnt(0)                                       // 000000012524: BF8CC07F
	s_barrier                                                  // 000000012528: BF8A0000
	ds_read_b64 v[112:113], v9 offset:25088                    // 00000001252C: D8EC6200 70000009
	ds_read_b64 v[114:115], v9 offset:25216                    // 000000012534: D8EC6280 72000009
	ds_read_b64 v[116:117], v9 offset:26112                    // 00000001253C: D8EC6600 74000009
	ds_read_b64 v[118:119], v9 offset:26240                    // 000000012544: D8EC6680 76000009
	ds_read_b64 v[120:121], v9 offset:27136                    // 00000001254C: D8EC6A00 78000009
	ds_read_b64 v[122:123], v9 offset:27264                    // 000000012554: D8EC6A80 7A000009
	ds_read_b64 v[124:125], v9 offset:28160                    // 00000001255C: D8EC6E00 7C000009
	ds_read_b64 v[126:127], v9 offset:28288                    // 000000012564: D8EC6E80 7E000009
	v_mov_b32_dpp v64, v42 row_shr:4 row_mask:0xf bank_mask:0xf// 00000001256C: 7E8002FA FF01142A
	v_mov_b32_dpp v65, v42 row_shl:4 row_mask:0xf bank_mask:0xf// 000000012574: 7E8202FA FF01042A
	v_cndmask_b32_e64 v248, v42, v64, s[44:45]                 // 00000001257C: D10000F8 00B2812A
	v_cndmask_b32_e64 v249, v65, v42, s[44:45]                 // 000000012584: D10000F9 00B25541
	v_mov_b32_dpp v64, v248 row_shr:8 row_mask:0xf bank_mask:0xf// 00000001258C: 7E8002FA FF0118F8
	v_mov_b32_dpp v65, v248 row_shl:8 row_mask:0xf bank_mask:0xf// 000000012594: 7E8202FA FF0108F8
	v_mov_b32_dpp v66, v249 row_shr:8 row_mask:0xf bank_mask:0xf// 00000001259C: 7E8402FA FF0118F9
	v_mov_b32_dpp v67, v249 row_shl:8 row_mask:0xf bank_mask:0xf// 0000000125A4: 7E8602FA FF0108F9
	v_mov_b32_e32 v68, v248                                    // 0000000125AC: 7E8803F8
	v_mov_b32_e32 v69, v249                                    // 0000000125B0: 7E8A03F9
	v_cndmask_b32_e64 v248, v68, v64, s[42:43]                 // 0000000125B4: D10000F8 00AA8144
	v_cndmask_b32_e64 v250, v68, v65, s[78:79]                 // 0000000125BC: D10000FA 013A8344
	v_cndmask_b32_e64 v249, v69, v66, s[42:43]                 // 0000000125C4: D10000F9 00AA8545
	v_cndmask_b32_e64 v251, v69, v67, s[78:79]                 // 0000000125CC: D10000FB 013A8745
	v_mov_b32_dpp v64, v57 row_shr:4 row_mask:0xf bank_mask:0xf// 0000000125D4: 7E8002FA FF011439
	v_mov_b32_dpp v65, v57 row_shl:4 row_mask:0xf bank_mask:0xf// 0000000125DC: 7E8202FA FF010439
	v_cndmask_b32_e64 v252, v57, v64, s[44:45]                 // 0000000125E4: D10000FC 00B28139
	v_cndmask_b32_e64 v253, v65, v57, s[44:45]                 // 0000000125EC: D10000FD 00B27341
	v_mov_b32_dpp v64, v252 row_shr:8 row_mask:0xf bank_mask:0xf// 0000000125F4: 7E8002FA FF0118FC
	v_mov_b32_dpp v65, v252 row_shl:8 row_mask:0xf bank_mask:0xf// 0000000125FC: 7E8202FA FF0108FC
	v_mov_b32_dpp v66, v253 row_shr:8 row_mask:0xf bank_mask:0xf// 000000012604: 7E8402FA FF0118FD
	v_mov_b32_dpp v67, v253 row_shl:8 row_mask:0xf bank_mask:0xf// 00000001260C: 7E8602FA FF0108FD
	v_mov_b32_e32 v68, v252                                    // 000000012614: 7E8803FC
	v_mov_b32_e32 v69, v253                                    // 000000012618: 7E8A03FD
	v_cndmask_b32_e64 v252, v68, v64, s[42:43]                 // 00000001261C: D10000FC 00AA8144
	v_cndmask_b32_e64 v254, v68, v65, s[78:79]                 // 000000012624: D10000FE 013A8344
	v_cndmask_b32_e64 v253, v69, v66, s[42:43]                 // 00000001262C: D10000FD 00AA8545
	v_cndmask_b32_e64 v255, v69, v67, s[78:79]                 // 000000012634: D10000FF 013A8745
	v_mul_f32_e32 v128, v19, v128                              // 00000001263C: 0B010113
	v_mul_f32_e32 v129, v19, v129                              // 000000012640: 0B030313
	v_mul_f32_e32 v130, v19, v130                              // 000000012644: 0B050513
	v_mul_f32_e32 v131, v19, v131                              // 000000012648: 0B070713
	v_mul_f32_e32 v132, v19, v132                              // 00000001264C: 0B090913
	v_mul_f32_e32 v133, v19, v133                              // 000000012650: 0B0B0B13
	v_mul_f32_e32 v134, v19, v134                              // 000000012654: 0B0D0D13
	v_mul_f32_e32 v135, v19, v135                              // 000000012658: 0B0F0F13
	v_mul_f32_e32 v136, v19, v136                              // 00000001265C: 0B111113
	v_mul_f32_e32 v137, v19, v137                              // 000000012660: 0B131313
	v_mul_f32_e32 v138, v19, v138                              // 000000012664: 0B151513
	v_mul_f32_e32 v139, v19, v139                              // 000000012668: 0B171713
	v_mul_f32_e32 v140, v19, v140                              // 00000001266C: 0B191913
	v_mul_f32_e32 v141, v19, v141                              // 000000012670: 0B1B1B13
	v_mul_f32_e32 v142, v19, v142                              // 000000012674: 0B1D1D13
	v_mul_f32_e32 v143, v19, v143                              // 000000012678: 0B1F1F13
	v_mul_f32_dpp v128, v248, v128 quad_perm:[0,0,0,0] row_mask:0xf bank_mask:0xf// 00000001267C: 0B0100FA FF0000F8
	v_mul_f32_dpp v129, v248, v129 quad_perm:[1,1,1,1] row_mask:0xf bank_mask:0xf// 000000012684: 0B0302FA FF0055F8
	v_mul_f32_dpp v130, v248, v130 quad_perm:[2,2,2,2] row_mask:0xf bank_mask:0xf// 00000001268C: 0B0504FA FF00AAF8
	v_mul_f32_dpp v131, v248, v131 quad_perm:[3,3,3,3] row_mask:0xf bank_mask:0xf// 000000012694: 0B0706FA FF00FFF8
	v_mul_f32_dpp v132, v249, v132 quad_perm:[0,0,0,0] row_mask:0xf bank_mask:0xf// 00000001269C: 0B0908FA FF0000F9
	v_mul_f32_dpp v133, v249, v133 quad_perm:[1,1,1,1] row_mask:0xf bank_mask:0xf// 0000000126A4: 0B0B0AFA FF0055F9
	v_mul_f32_dpp v134, v249, v134 quad_perm:[2,2,2,2] row_mask:0xf bank_mask:0xf// 0000000126AC: 0B0D0CFA FF00AAF9
	v_mul_f32_dpp v135, v249, v135 quad_perm:[3,3,3,3] row_mask:0xf bank_mask:0xf// 0000000126B4: 0B0F0EFA FF00FFF9
	v_mul_f32_dpp v136, v250, v136 quad_perm:[0,0,0,0] row_mask:0xf bank_mask:0xf// 0000000126BC: 0B1110FA FF0000FA
	v_mul_f32_dpp v137, v250, v137 quad_perm:[1,1,1,1] row_mask:0xf bank_mask:0xf// 0000000126C4: 0B1312FA FF0055FA
	v_mul_f32_dpp v138, v250, v138 quad_perm:[2,2,2,2] row_mask:0xf bank_mask:0xf// 0000000126CC: 0B1514FA FF00AAFA
	v_mul_f32_dpp v139, v250, v139 quad_perm:[3,3,3,3] row_mask:0xf bank_mask:0xf// 0000000126D4: 0B1716FA FF00FFFA
	v_mul_f32_dpp v140, v251, v140 quad_perm:[0,0,0,0] row_mask:0xf bank_mask:0xf// 0000000126DC: 0B1918FA FF0000FB
	v_mul_f32_dpp v141, v251, v141 quad_perm:[1,1,1,1] row_mask:0xf bank_mask:0xf// 0000000126E4: 0B1B1AFA FF0055FB
	v_mul_f32_dpp v142, v251, v142 quad_perm:[2,2,2,2] row_mask:0xf bank_mask:0xf// 0000000126EC: 0B1D1CFA FF00AAFB
	v_mul_f32_dpp v143, v251, v143 quad_perm:[3,3,3,3] row_mask:0xf bank_mask:0xf// 0000000126F4: 0B1F1EFA FF00FFFB
	v_mov_b32_e32 v48, v128                                    // 0000000126FC: 7E600380
	v_max3_f32 v48, v128, v129, v48                            // 000000012700: D1D30030 04C30380
	v_max3_f32 v48, v130, v131, v48                            // 000000012708: D1D30030 04C30782
	v_max3_f32 v48, v132, v133, v48                            // 000000012710: D1D30030 04C30B84
	v_max3_f32 v48, v134, v135, v48                            // 000000012718: D1D30030 04C30F86
	v_max3_f32 v48, v136, v137, v48                            // 000000012720: D1D30030 04C31388
	v_max3_f32 v48, v138, v139, v48                            // 000000012728: D1D30030 04C3178A
	v_max3_f32 v48, v140, v141, v48                            // 000000012730: D1D30030 04C31B8C
	v_max3_f32 v48, v142, v143, v48                            // 000000012738: D1D30030 04C31F8E
	ds_write_b32 v8, v48 offset:16896                          // 000000012740: D81A4200 00003008
	v_mul_f32_e32 v216, v50, v216                              // 000000012748: 0BB1B132
	v_mul_f32_e32 v217, v50, v217                              // 00000001274C: 0BB3B332
	v_mul_f32_e32 v218, v50, v218                              // 000000012750: 0BB5B532
	v_mul_f32_e32 v219, v50, v219                              // 000000012754: 0BB7B732
	v_mul_f32_e32 v220, v50, v220                              // 000000012758: 0BB9B932
	v_mul_f32_e32 v221, v50, v221                              // 00000001275C: 0BBBBB32
	v_mul_f32_e32 v222, v50, v222                              // 000000012760: 0BBDBD32
	v_mul_f32_e32 v223, v50, v223                              // 000000012764: 0BBFBF32
	s_waitcnt lgkmcnt(0)                                       // 000000012768: BF8CC07F
	s_barrier                                                  // 00000001276C: BF8A0000
	ds_read_b32 v64, v7 offset:16896                           // 000000012770: D86C4200 40000007
	ds_read_b32 v65, v7 offset:16960                           // 000000012778: D86C4240 41000007
	ds_read_b32 v66, v7 offset:17024                           // 000000012780: D86C4280 42000007
	ds_read_b32 v67, v7 offset:17088                           // 000000012788: D86C42C0 43000007
	ds_read_b32 v68, v7 offset:17152                           // 000000012790: D86C4300 44000007
	ds_read_b32 v69, v7 offset:17216                           // 000000012798: D86C4340 45000007
	ds_read_b32 v70, v7 offset:17280                           // 0000000127A0: D86C4380 46000007
	ds_read_b32 v71, v7 offset:17344                           // 0000000127A8: D86C43C0 47000007
	ds_read_b32 v72, v7 offset:17408                           // 0000000127B0: D86C4400 48000007
	ds_read_b32 v73, v7 offset:17472                           // 0000000127B8: D86C4440 49000007
	ds_read_b32 v74, v7 offset:17536                           // 0000000127C0: D86C4480 4A000007
	ds_read_b32 v75, v7 offset:17600                           // 0000000127C8: D86C44C0 4B000007
	ds_read_b32 v76, v7 offset:17664                           // 0000000127D0: D86C4500 4C000007
	ds_read_b32 v77, v7 offset:17728                           // 0000000127D8: D86C4540 4D000007
	ds_read_b32 v78, v7 offset:17792                           // 0000000127E0: D86C4580 4E000007
	ds_read_b32 v79, v7 offset:17856                           // 0000000127E8: D86C45C0 4F000007
	v_mul_f32_e32 v184, v45, v184                              // 0000000127F0: 0B71712D
	v_mul_f32_e32 v185, v45, v185                              // 0000000127F4: 0B73732D
	v_mul_f32_e32 v186, v45, v186                              // 0000000127F8: 0B75752D
	v_mul_f32_e32 v187, v45, v187                              // 0000000127FC: 0B77772D
	v_mul_f32_e32 v188, v45, v188                              // 000000012800: 0B79792D
	v_mul_f32_e32 v189, v45, v189                              // 000000012804: 0B7B7B2D
	v_mul_f32_e32 v190, v45, v190                              // 000000012808: 0B7D7D2D
	v_mul_f32_e32 v191, v45, v191                              // 00000001280C: 0B7F7F2D
	s_waitcnt lgkmcnt(0)                                       // 000000012810: BF8CC07F
	v_max3_f32 v48, v64, v65, v48                              // 000000012814: D1D30030 04C28340
	v_max3_f32 v48, v66, v67, v48                              // 00000001281C: D1D30030 04C28742
	v_max3_f32 v48, v68, v69, v48                              // 000000012824: D1D30030 04C28B44
	v_max3_f32 v48, v70, v71, v48                              // 00000001282C: D1D30030 04C28F46
	v_max3_f32 v48, v72, v73, v48                              // 000000012834: D1D30030 04C29348
	v_max3_f32 v48, v74, v75, v48                              // 00000001283C: D1D30030 04C2974A
	v_max3_f32 v48, v76, v77, v48                              // 000000012844: D1D30030 04C29B4C
	v_max3_f32 v48, v78, v79, v48                              // 00000001284C: D1D30030 04C29F4E
	v_mov_b32_e32 v64, 0xff800000                              // 000000012854: 7E8002FF FF800000
	v_cmp_eq_u32_e64 s[40:41], v64, v12                        // 00000001285C: D0CA0028 00021940
	s_nop 1                                                    // 000000012864: BF800001
	v_max_f32_e32 v15, v48, v12                                // 000000012868: 161E1930
	v_mul_f32_e32 v53, s64, v15                                // 00000001286C: 0A6A1E40
	v_fma_f32 v128, v128, s64, -v53                            // 000000012870: D1CB0080 84D48180
	v_fma_f32 v129, v129, s64, -v53                            // 000000012878: D1CB0081 84D48181
	v_fma_f32 v130, v130, s64, -v53                            // 000000012880: D1CB0082 84D48182
	v_fma_f32 v131, v131, s64, -v53                            // 000000012888: D1CB0083 84D48183
	v_fma_f32 v132, v132, s64, -v53                            // 000000012890: D1CB0084 84D48184
	v_fma_f32 v133, v133, s64, -v53                            // 000000012898: D1CB0085 84D48185
	v_fma_f32 v134, v134, s64, -v53                            // 0000000128A0: D1CB0086 84D48186
	v_fma_f32 v135, v135, s64, -v53                            // 0000000128A8: D1CB0087 84D48187
	v_fma_f32 v136, v136, s64, -v53                            // 0000000128B0: D1CB0088 84D48188
	v_fma_f32 v137, v137, s64, -v53                            // 0000000128B8: D1CB0089 84D48189
	v_fma_f32 v138, v138, s64, -v53                            // 0000000128C0: D1CB008A 84D4818A
	v_fma_f32 v139, v139, s64, -v53                            // 0000000128C8: D1CB008B 84D4818B
	v_fma_f32 v140, v140, s64, -v53                            // 0000000128D0: D1CB008C 84D4818C
	v_fma_f32 v141, v141, s64, -v53                            // 0000000128D8: D1CB008D 84D4818D
	v_fma_f32 v142, v142, s64, -v53                            // 0000000128E0: D1CB008E 84D4818E
	v_fma_f32 v143, v143, s64, -v53                            // 0000000128E8: D1CB008F 84D4818F
	v_exp_f32_e32 v128, v128                                   // 0000000128F0: 7F004180
	v_exp_f32_e32 v129, v129                                   // 0000000128F4: 7F024181
	v_exp_f32_e32 v130, v130                                   // 0000000128F8: 7F044182
	v_exp_f32_e32 v131, v131                                   // 0000000128FC: 7F064183
	v_exp_f32_e32 v132, v132                                   // 000000012900: 7F084184
	v_exp_f32_e32 v133, v133                                   // 000000012904: 7F0A4185
	v_exp_f32_e32 v134, v134                                   // 000000012908: 7F0C4186
	v_exp_f32_e32 v135, v135                                   // 00000001290C: 7F0E4187
	v_exp_f32_e32 v136, v136                                   // 000000012910: 7F104188
	v_exp_f32_e32 v137, v137                                   // 000000012914: 7F124189
	v_exp_f32_e32 v138, v138                                   // 000000012918: 7F14418A
	v_exp_f32_e32 v139, v139                                   // 00000001291C: 7F16418B
	v_exp_f32_e32 v140, v140                                   // 000000012920: 7F18418C
	v_exp_f32_e32 v141, v141                                   // 000000012924: 7F1A418D
	v_exp_f32_e32 v142, v142                                   // 000000012928: 7F1C418E
	v_exp_f32_e32 v143, v143                                   // 00000001292C: 7F1E418F
	v_mul_f32_dpp v240, v252, v128 quad_perm:[0,0,0,0] row_mask:0xf bank_mask:0xf// 000000012930: 0BE100FA FF0000FC
	v_mul_f32_dpp v241, v252, v129 quad_perm:[1,1,1,1] row_mask:0xf bank_mask:0xf// 000000012938: 0BE302FA FF0055FC
	v_mul_f32_dpp v242, v252, v130 quad_perm:[2,2,2,2] row_mask:0xf bank_mask:0xf// 000000012940: 0BE504FA FF00AAFC
	v_mul_f32_dpp v243, v252, v131 quad_perm:[3,3,3,3] row_mask:0xf bank_mask:0xf// 000000012948: 0BE706FA FF00FFFC
	v_mul_f32_dpp v244, v253, v132 quad_perm:[0,0,0,0] row_mask:0xf bank_mask:0xf// 000000012950: 0BE908FA FF0000FD
	v_mul_f32_dpp v245, v253, v133 quad_perm:[1,1,1,1] row_mask:0xf bank_mask:0xf// 000000012958: 0BEB0AFA FF0055FD
	v_mul_f32_dpp v246, v253, v134 quad_perm:[2,2,2,2] row_mask:0xf bank_mask:0xf// 000000012960: 0BED0CFA FF00AAFD
	v_mul_f32_dpp v247, v253, v135 quad_perm:[3,3,3,3] row_mask:0xf bank_mask:0xf// 000000012968: 0BEF0EFA FF00FFFD
	v_mul_f32_dpp v248, v254, v136 quad_perm:[0,0,0,0] row_mask:0xf bank_mask:0xf// 000000012970: 0BF110FA FF0000FE
	v_mul_f32_dpp v249, v254, v137 quad_perm:[1,1,1,1] row_mask:0xf bank_mask:0xf// 000000012978: 0BF312FA FF0055FE
	v_mul_f32_dpp v250, v254, v138 quad_perm:[2,2,2,2] row_mask:0xf bank_mask:0xf// 000000012980: 0BF514FA FF00AAFE
	v_mul_f32_dpp v251, v254, v139 quad_perm:[3,3,3,3] row_mask:0xf bank_mask:0xf// 000000012988: 0BF716FA FF00FFFE
	v_mul_f32_dpp v252, v255, v140 quad_perm:[0,0,0,0] row_mask:0xf bank_mask:0xf// 000000012990: 0BF918FA FF0000FF
	v_mul_f32_dpp v253, v255, v141 quad_perm:[1,1,1,1] row_mask:0xf bank_mask:0xf// 000000012998: 0BFB1AFA FF0055FF
	v_mul_f32_dpp v254, v255, v142 quad_perm:[2,2,2,2] row_mask:0xf bank_mask:0xf// 0000000129A0: 0BFD1CFA FF00AAFF
	v_mul_f32_dpp v255, v255, v143 quad_perm:[3,3,3,3] row_mask:0xf bank_mask:0xf// 0000000129A8: 0BFF1EFA FF00FFFF
	v_mov_b32_e32 v48, 0x358637bd                              // 0000000129B0: 7E6002FF 358637BD
	v_max3_f32 v48, |v240|, |v241|, v48                        // 0000000129B8: D1D30330 04C3E3F0
	v_max3_f32 v48, |v242|, |v243|, v48                        // 0000000129C0: D1D30330 04C3E7F2
	v_max3_f32 v48, |v244|, |v245|, v48                        // 0000000129C8: D1D30330 04C3EBF4
	v_max3_f32 v48, |v246|, |v247|, v48                        // 0000000129D0: D1D30330 04C3EFF6
	v_max3_f32 v48, |v248|, |v249|, v48                        // 0000000129D8: D1D30330 04C3F3F8
	v_max3_f32 v48, |v250|, |v251|, v48                        // 0000000129E0: D1D30330 04C3F7FA
	v_max3_f32 v48, |v252|, |v253|, v48                        // 0000000129E8: D1D30330 04C3FBFC
	v_max3_f32 v48, |v254|, |v255|, v48                        // 0000000129F0: D1D30330 04C3FFFE
	ds_write_b32 v8, v48 offset:20992                          // 0000000129F8: D81A5200 00003008
	v_sub_f32_e32 v50, v12, v15                                // 000000012A00: 04641F0C
	v_cndmask_b32_e64 v50, v50, 0, s[40:41]                    // 000000012A04: D1000032 00A10132
	v_mov_b32_e32 v12, v15                                     // 000000012A0C: 7E18030F
	v_mul_f32_e32 v50, s64, v50                                // 000000012A10: 0A646440
	v_exp_f32_e32 v50, v50                                     // 000000012A14: 7E644132
	s_waitcnt lgkmcnt(0)                                       // 000000012A18: BF8CC07F
	s_barrier                                                  // 000000012A1C: BF8A0000
	ds_read_b32 v64, v7 offset:20992                           // 000000012A20: D86C5200 40000007
	ds_read_b32 v65, v7 offset:21056                           // 000000012A28: D86C5240 41000007
	ds_read_b32 v66, v7 offset:21120                           // 000000012A30: D86C5280 42000007
	ds_read_b32 v67, v7 offset:21184                           // 000000012A38: D86C52C0 43000007
	ds_read_b32 v68, v7 offset:21248                           // 000000012A40: D86C5300 44000007
	ds_read_b32 v69, v7 offset:21312                           // 000000012A48: D86C5340 45000007
	ds_read_b32 v70, v7 offset:21376                           // 000000012A50: D86C5380 46000007
	ds_read_b32 v71, v7 offset:21440                           // 000000012A58: D86C53C0 47000007
	ds_read_b32 v72, v7 offset:21504                           // 000000012A60: D86C5400 48000007
	ds_read_b32 v73, v7 offset:21568                           // 000000012A68: D86C5440 49000007
	ds_read_b32 v74, v7 offset:21632                           // 000000012A70: D86C5480 4A000007
	ds_read_b32 v75, v7 offset:21696                           // 000000012A78: D86C54C0 4B000007
	ds_read_b32 v76, v7 offset:21760                           // 000000012A80: D86C5500 4C000007
	ds_read_b32 v77, v7 offset:21824                           // 000000012A88: D86C5540 4D000007
	ds_read_b32 v78, v7 offset:21888                           // 000000012A90: D86C5580 4E000007
	ds_read_b32 v79, v7 offset:21952                           // 000000012A98: D86C55C0 4F000007
	v_mul_f32_e32 v39, v50, v39                                // 000000012AA0: 0A4E4F32
	v_mov_b32_e32 v15, v128                                    // 000000012AA4: 7E1E0380
	v_add_f32_e32 v15, v129, v15                               // 000000012AA8: 021E1F81
	v_add_f32_e32 v15, v130, v15                               // 000000012AAC: 021E1F82
	v_add_f32_e32 v15, v131, v15                               // 000000012AB0: 021E1F83
	v_add_f32_e32 v15, v132, v15                               // 000000012AB4: 021E1F84
	v_add_f32_e32 v15, v133, v15                               // 000000012AB8: 021E1F85
	v_add_f32_e32 v15, v134, v15                               // 000000012ABC: 021E1F86
	v_add_f32_e32 v15, v135, v15                               // 000000012AC0: 021E1F87
	v_add_f32_e32 v15, v136, v15                               // 000000012AC4: 021E1F88
	v_add_f32_e32 v15, v137, v15                               // 000000012AC8: 021E1F89
	v_add_f32_e32 v15, v138, v15                               // 000000012ACC: 021E1F8A
	v_add_f32_e32 v15, v139, v15                               // 000000012AD0: 021E1F8B
	v_add_f32_e32 v15, v140, v15                               // 000000012AD4: 021E1F8C
	v_add_f32_e32 v15, v141, v15                               // 000000012AD8: 021E1F8D
	v_add_f32_e32 v15, v142, v15                               // 000000012ADC: 021E1F8E
	v_add_f32_e32 v15, v143, v15                               // 000000012AE0: 021E1F8F
	v_add_f32_e32 v39, v15, v39                                // 000000012AE4: 024E4F0F
	s_waitcnt lgkmcnt(0)                                       // 000000012AE8: BF8CC07F
	v_max3_f32 v48, |v64|, |v65|, v48                          // 000000012AEC: D1D30330 04C28340
	v_max3_f32 v48, |v66|, |v67|, v48                          // 000000012AF4: D1D30330 04C28742
	v_max3_f32 v48, |v68|, |v69|, v48                          // 000000012AFC: D1D30330 04C28B44
	v_max3_f32 v48, |v70|, |v71|, v48                          // 000000012B04: D1D30330 04C28F46
	v_max3_f32 v48, |v72|, |v73|, v48                          // 000000012B0C: D1D30330 04C29348
	v_max3_f32 v48, |v74|, |v75|, v48                          // 000000012B14: D1D30330 04C2974A
	v_max3_f32 v48, |v76|, |v77|, v48                          // 000000012B1C: D1D30330 04C29B4C
	v_max3_f32 v48, |v78|, |v79|, v48                          // 000000012B24: D1D30330 04C29F4E
	s_nop 2                                                    // 000000012B2C: BF800002
	v_rcp_f32_e32 v48, v48                                     // 000000012B30: 7E604530
	s_nop 1                                                    // 000000012B34: BF800001
	v_mul_f32_e32 v48, 0x43e00000, v48                         // 000000012B38: 0A6060FF 43E00000
	v_mul_f32_e32 v128, v48, v240                              // 000000012B40: 0B01E130
	v_mul_f32_e32 v129, v48, v241                              // 000000012B44: 0B03E330
	v_mul_f32_e32 v130, v48, v242                              // 000000012B48: 0B05E530
	v_mul_f32_e32 v131, v48, v243                              // 000000012B4C: 0B07E730
	v_mul_f32_e32 v132, v48, v244                              // 000000012B50: 0B09E930
	v_mul_f32_e32 v133, v48, v245                              // 000000012B54: 0B0BEB30
	v_mul_f32_e32 v134, v48, v246                              // 000000012B58: 0B0DED30
	v_mul_f32_e32 v135, v48, v247                              // 000000012B5C: 0B0FEF30
	v_mul_f32_e32 v136, v48, v248                              // 000000012B60: 0B11F130
	v_mul_f32_e32 v137, v48, v249                              // 000000012B64: 0B13F330
	v_mul_f32_e32 v138, v48, v250                              // 000000012B68: 0B15F530
	v_mul_f32_e32 v139, v48, v251                              // 000000012B6C: 0B17F730
	v_mul_f32_e32 v140, v48, v252                              // 000000012B70: 0B19F930
	v_mul_f32_e32 v141, v48, v253                              // 000000012B74: 0B1BFB30
	v_mul_f32_e32 v142, v48, v254                              // 000000012B78: 0B1DFD30
	v_mul_f32_e32 v143, v48, v255                              // 000000012B7C: 0B1FFF30
	v_cvt_pk_fp8_f32 v128, v128, v129                          // 000000012B80: D2A20080 00030380
	v_cvt_pk_fp8_f32 v128, v130, v131 op_sel:[0,0,1]           // 000000012B88: D2A24080 00030782
	v_cvt_pk_fp8_f32 v129, v132, v133                          // 000000012B90: D2A20081 00030B84
	v_cvt_pk_fp8_f32 v129, v134, v135 op_sel:[0,0,1]           // 000000012B98: D2A24081 00030F86
	v_cvt_pk_fp8_f32 v130, v136, v137                          // 000000012BA0: D2A20082 00031388
	v_cvt_pk_fp8_f32 v130, v138, v139 op_sel:[0,0,1]           // 000000012BA8: D2A24082 0003178A
	v_cvt_pk_fp8_f32 v131, v140, v141                          // 000000012BB0: D2A20083 00031B8C
	v_cvt_pk_fp8_f32 v131, v142, v143 op_sel:[0,0,1]           // 000000012BB8: D2A24083 00031F8E
	ds_write_b32 v10, v128 offset:29184                        // 000000012BC0: D81A7200 0000800A
	ds_write_b32 v10, v129 offset:30208                        // 000000012BC8: D81A7600 0000810A
	ds_write_b32 v10, v130 offset:31232                        // 000000012BD0: D81A7A00 0000820A
	ds_write_b32 v10, v131 offset:32256                        // 000000012BD8: D81A7E00 0000830A
	v_add_f32_e32 v216, v216, v184                             // 000000012BE0: 03B171D8
	v_add_f32_e32 v217, v217, v185                             // 000000012BE4: 03B373D9
	v_add_f32_e32 v218, v218, v186                             // 000000012BE8: 03B575DA
	v_add_f32_e32 v219, v219, v187                             // 000000012BEC: 03B777DB
	v_add_f32_e32 v220, v220, v188                             // 000000012BF0: 03B979DC
	v_add_f32_e32 v221, v221, v189                             // 000000012BF4: 03BB7BDD
	v_add_f32_e32 v222, v222, v190                             // 000000012BF8: 03BD7DDE
	v_add_f32_e32 v223, v223, v191                             // 000000012BFC: 03BF7FDF
	v_rcp_f32_e32 v45, v48                                     // 000000012C00: 7E5A4530
	s_waitcnt lgkmcnt(0)                                       // 000000012C04: BF8CC07F
	s_barrier                                                  // 000000012C08: BF8A0000
	ds_read_b64 v[128:129], v9 offset:29184                    // 000000012C0C: D8EC7200 80000009
	ds_read_b64 v[130:131], v9 offset:29312                    // 000000012C14: D8EC7280 82000009
	ds_read_b64 v[132:133], v9 offset:30208                    // 000000012C1C: D8EC7600 84000009
	ds_read_b64 v[134:135], v9 offset:30336                    // 000000012C24: D8EC7680 86000009
	ds_read_b64 v[136:137], v9 offset:31232                    // 000000012C2C: D8EC7A00 88000009
	ds_read_b64 v[138:139], v9 offset:31360                    // 000000012C34: D8EC7A80 8A000009
	ds_read_b64 v[140:141], v9 offset:32256                    // 000000012C3C: D8EC7E00 8C000009
	ds_read_b64 v[142:143], v9 offset:32384                    // 000000012C44: D8EC7E80 8E000009
	v_mov_b32_dpp v64, v42 row_shr:4 row_mask:0xf bank_mask:0xf// 000000012C4C: 7E8002FA FF01142A
	v_mov_b32_dpp v65, v42 row_shl:4 row_mask:0xf bank_mask:0xf// 000000012C54: 7E8202FA FF01042A
	v_cndmask_b32_e64 v248, v42, v64, s[44:45]                 // 000000012C5C: D10000F8 00B2812A
	v_cndmask_b32_e64 v249, v65, v42, s[44:45]                 // 000000012C64: D10000F9 00B25541
	v_mov_b32_dpp v64, v248 row_shr:8 row_mask:0xf bank_mask:0xf// 000000012C6C: 7E8002FA FF0118F8
	v_mov_b32_dpp v65, v248 row_shl:8 row_mask:0xf bank_mask:0xf// 000000012C74: 7E8202FA FF0108F8
	v_mov_b32_dpp v66, v249 row_shr:8 row_mask:0xf bank_mask:0xf// 000000012C7C: 7E8402FA FF0118F9
	v_mov_b32_dpp v67, v249 row_shl:8 row_mask:0xf bank_mask:0xf// 000000012C84: 7E8602FA FF0108F9
	v_mov_b32_e32 v68, v248                                    // 000000012C8C: 7E8803F8
	v_mov_b32_e32 v69, v249                                    // 000000012C90: 7E8A03F9
	v_cndmask_b32_e64 v248, v68, v64, s[42:43]                 // 000000012C94: D10000F8 00AA8144
	v_cndmask_b32_e64 v250, v68, v65, s[78:79]                 // 000000012C9C: D10000FA 013A8344
	v_cndmask_b32_e64 v249, v69, v66, s[42:43]                 // 000000012CA4: D10000F9 00AA8545
	v_cndmask_b32_e64 v251, v69, v67, s[78:79]                 // 000000012CAC: D10000FB 013A8745
	v_mov_b32_dpp v64, v57 row_shr:4 row_mask:0xf bank_mask:0xf// 000000012CB4: 7E8002FA FF011439
	v_mov_b32_dpp v65, v57 row_shl:4 row_mask:0xf bank_mask:0xf// 000000012CBC: 7E8202FA FF010439
	v_cndmask_b32_e64 v252, v57, v64, s[44:45]                 // 000000012CC4: D10000FC 00B28139
	v_cndmask_b32_e64 v253, v65, v57, s[44:45]                 // 000000012CCC: D10000FD 00B27341
	v_mov_b32_dpp v64, v252 row_shr:8 row_mask:0xf bank_mask:0xf// 000000012CD4: 7E8002FA FF0118FC
	v_mov_b32_dpp v65, v252 row_shl:8 row_mask:0xf bank_mask:0xf// 000000012CDC: 7E8202FA FF0108FC
	v_mov_b32_dpp v66, v253 row_shr:8 row_mask:0xf bank_mask:0xf// 000000012CE4: 7E8402FA FF0118FD
	v_mov_b32_dpp v67, v253 row_shl:8 row_mask:0xf bank_mask:0xf// 000000012CEC: 7E8602FA FF0108FD
	v_mov_b32_e32 v68, v252                                    // 000000012CF4: 7E8803FC
	v_mov_b32_e32 v69, v253                                    // 000000012CF8: 7E8A03FD
	v_cndmask_b32_e64 v252, v68, v64, s[42:43]                 // 000000012CFC: D10000FC 00AA8144
	v_cndmask_b32_e64 v254, v68, v65, s[78:79]                 // 000000012D04: D10000FE 013A8344
	v_cndmask_b32_e64 v253, v69, v66, s[42:43]                 // 000000012D0C: D10000FD 00AA8545
	v_cndmask_b32_e64 v255, v69, v67, s[78:79]                 // 000000012D14: D10000FF 013A8745
	v_mul_f32_e32 v144, v20, v144                              // 000000012D1C: 0B212114
	v_mul_f32_e32 v145, v20, v145                              // 000000012D20: 0B232314
	v_mul_f32_e32 v146, v20, v146                              // 000000012D24: 0B252514
	v_mul_f32_e32 v147, v20, v147                              // 000000012D28: 0B272714
	v_mul_f32_e32 v148, v20, v148                              // 000000012D2C: 0B292914
	v_mul_f32_e32 v149, v20, v149                              // 000000012D30: 0B2B2B14
	v_mul_f32_e32 v150, v20, v150                              // 000000012D34: 0B2D2D14
	v_mul_f32_e32 v151, v20, v151                              // 000000012D38: 0B2F2F14
	v_mul_f32_e32 v152, v20, v152                              // 000000012D3C: 0B313114
	v_mul_f32_e32 v153, v20, v153                              // 000000012D40: 0B333314
	v_mul_f32_e32 v154, v20, v154                              // 000000012D44: 0B353514
	v_mul_f32_e32 v155, v20, v155                              // 000000012D48: 0B373714
	v_mul_f32_e32 v156, v20, v156                              // 000000012D4C: 0B393914
	v_mul_f32_e32 v157, v20, v157                              // 000000012D50: 0B3B3B14
	v_mul_f32_e32 v158, v20, v158                              // 000000012D54: 0B3D3D14
	v_mul_f32_e32 v159, v20, v159                              // 000000012D58: 0B3F3F14
	v_mul_f32_dpp v144, v248, v144 quad_perm:[0,0,0,0] row_mask:0xf bank_mask:0xf// 000000012D5C: 0B2120FA FF0000F8
	v_mul_f32_dpp v145, v248, v145 quad_perm:[1,1,1,1] row_mask:0xf bank_mask:0xf// 000000012D64: 0B2322FA FF0055F8
	v_mul_f32_dpp v146, v248, v146 quad_perm:[2,2,2,2] row_mask:0xf bank_mask:0xf// 000000012D6C: 0B2524FA FF00AAF8
	v_mul_f32_dpp v147, v248, v147 quad_perm:[3,3,3,3] row_mask:0xf bank_mask:0xf// 000000012D74: 0B2726FA FF00FFF8
	v_mul_f32_dpp v148, v249, v148 quad_perm:[0,0,0,0] row_mask:0xf bank_mask:0xf// 000000012D7C: 0B2928FA FF0000F9
	v_mul_f32_dpp v149, v249, v149 quad_perm:[1,1,1,1] row_mask:0xf bank_mask:0xf// 000000012D84: 0B2B2AFA FF0055F9
	v_mul_f32_dpp v150, v249, v150 quad_perm:[2,2,2,2] row_mask:0xf bank_mask:0xf// 000000012D8C: 0B2D2CFA FF00AAF9
	v_mul_f32_dpp v151, v249, v151 quad_perm:[3,3,3,3] row_mask:0xf bank_mask:0xf// 000000012D94: 0B2F2EFA FF00FFF9
	v_mul_f32_dpp v152, v250, v152 quad_perm:[0,0,0,0] row_mask:0xf bank_mask:0xf// 000000012D9C: 0B3130FA FF0000FA
	v_mul_f32_dpp v153, v250, v153 quad_perm:[1,1,1,1] row_mask:0xf bank_mask:0xf// 000000012DA4: 0B3332FA FF0055FA
	v_mul_f32_dpp v154, v250, v154 quad_perm:[2,2,2,2] row_mask:0xf bank_mask:0xf// 000000012DAC: 0B3534FA FF00AAFA
	v_mul_f32_dpp v155, v250, v155 quad_perm:[3,3,3,3] row_mask:0xf bank_mask:0xf// 000000012DB4: 0B3736FA FF00FFFA
	v_mul_f32_dpp v156, v251, v156 quad_perm:[0,0,0,0] row_mask:0xf bank_mask:0xf// 000000012DBC: 0B3938FA FF0000FB
	v_mul_f32_dpp v157, v251, v157 quad_perm:[1,1,1,1] row_mask:0xf bank_mask:0xf// 000000012DC4: 0B3B3AFA FF0055FB
	v_mul_f32_dpp v158, v251, v158 quad_perm:[2,2,2,2] row_mask:0xf bank_mask:0xf// 000000012DCC: 0B3D3CFA FF00AAFB
	v_mul_f32_dpp v159, v251, v159 quad_perm:[3,3,3,3] row_mask:0xf bank_mask:0xf// 000000012DD4: 0B3F3EFA FF00FFFB
	v_mov_b32_e32 v48, v144                                    // 000000012DDC: 7E600390
	v_max3_f32 v48, v144, v145, v48                            // 000000012DE0: D1D30030 04C32390
	v_max3_f32 v48, v146, v147, v48                            // 000000012DE8: D1D30030 04C32792
	v_max3_f32 v48, v148, v149, v48                            // 000000012DF0: D1D30030 04C32B94
	v_max3_f32 v48, v150, v151, v48                            // 000000012DF8: D1D30030 04C32F96
	v_max3_f32 v48, v152, v153, v48                            // 000000012E00: D1D30030 04C33398
	v_max3_f32 v48, v154, v155, v48                            // 000000012E08: D1D30030 04C3379A
	v_max3_f32 v48, v156, v157, v48                            // 000000012E10: D1D30030 04C33B9C
	v_max3_f32 v48, v158, v159, v48                            // 000000012E18: D1D30030 04C33F9E
	ds_write_b32 v8, v48 offset:16896                          // 000000012E20: D81A4200 00003008
	v_mul_f32_e32 v224, v51, v224                              // 000000012E28: 0BC1C133
	v_mul_f32_e32 v225, v51, v225                              // 000000012E2C: 0BC3C333
	v_mul_f32_e32 v226, v51, v226                              // 000000012E30: 0BC5C533
	v_mul_f32_e32 v227, v51, v227                              // 000000012E34: 0BC7C733
	v_mul_f32_e32 v228, v51, v228                              // 000000012E38: 0BC9C933
	v_mul_f32_e32 v229, v51, v229                              // 000000012E3C: 0BCBCB33
	v_mul_f32_e32 v230, v51, v230                              // 000000012E40: 0BCDCD33
	v_mul_f32_e32 v231, v51, v231                              // 000000012E44: 0BCFCF33
	s_waitcnt lgkmcnt(0)                                       // 000000012E48: BF8CC07F
	s_barrier                                                  // 000000012E4C: BF8A0000
	ds_read_b32 v64, v7 offset:16896                           // 000000012E50: D86C4200 40000007
	ds_read_b32 v65, v7 offset:16960                           // 000000012E58: D86C4240 41000007
	ds_read_b32 v66, v7 offset:17024                           // 000000012E60: D86C4280 42000007
	ds_read_b32 v67, v7 offset:17088                           // 000000012E68: D86C42C0 43000007
	ds_read_b32 v68, v7 offset:17152                           // 000000012E70: D86C4300 44000007
	ds_read_b32 v69, v7 offset:17216                           // 000000012E78: D86C4340 45000007
	ds_read_b32 v70, v7 offset:17280                           // 000000012E80: D86C4380 46000007
	ds_read_b32 v71, v7 offset:17344                           // 000000012E88: D86C43C0 47000007
	ds_read_b32 v72, v7 offset:17408                           // 000000012E90: D86C4400 48000007
	ds_read_b32 v73, v7 offset:17472                           // 000000012E98: D86C4440 49000007
	ds_read_b32 v74, v7 offset:17536                           // 000000012EA0: D86C4480 4A000007
	ds_read_b32 v75, v7 offset:17600                           // 000000012EA8: D86C44C0 4B000007
	ds_read_b32 v76, v7 offset:17664                           // 000000012EB0: D86C4500 4C000007
	ds_read_b32 v77, v7 offset:17728                           // 000000012EB8: D86C4540 4D000007
	ds_read_b32 v78, v7 offset:17792                           // 000000012EC0: D86C4580 4E000007
	ds_read_b32 v79, v7 offset:17856                           // 000000012EC8: D86C45C0 4F000007
	v_mul_f32_e32 v192, v46, v192                              // 000000012ED0: 0B81812E
	v_mul_f32_e32 v193, v46, v193                              // 000000012ED4: 0B83832E
	v_mul_f32_e32 v194, v46, v194                              // 000000012ED8: 0B85852E
	v_mul_f32_e32 v195, v46, v195                              // 000000012EDC: 0B87872E
	v_mul_f32_e32 v196, v46, v196                              // 000000012EE0: 0B89892E
	v_mul_f32_e32 v197, v46, v197                              // 000000012EE4: 0B8B8B2E
	v_mul_f32_e32 v198, v46, v198                              // 000000012EE8: 0B8D8D2E
	v_mul_f32_e32 v199, v46, v199                              // 000000012EEC: 0B8F8F2E
	s_waitcnt lgkmcnt(0)                                       // 000000012EF0: BF8CC07F
	v_max3_f32 v48, v64, v65, v48                              // 000000012EF4: D1D30030 04C28340
	v_max3_f32 v48, v66, v67, v48                              // 000000012EFC: D1D30030 04C28742
	v_max3_f32 v48, v68, v69, v48                              // 000000012F04: D1D30030 04C28B44
	v_max3_f32 v48, v70, v71, v48                              // 000000012F0C: D1D30030 04C28F46
	v_max3_f32 v48, v72, v73, v48                              // 000000012F14: D1D30030 04C29348
	v_max3_f32 v48, v74, v75, v48                              // 000000012F1C: D1D30030 04C2974A
	v_max3_f32 v48, v76, v77, v48                              // 000000012F24: D1D30030 04C29B4C
	v_max3_f32 v48, v78, v79, v48                              // 000000012F2C: D1D30030 04C29F4E
	v_mov_b32_e32 v64, 0xff800000                              // 000000012F34: 7E8002FF FF800000
	v_cmp_eq_u32_e64 s[40:41], v64, v13                        // 000000012F3C: D0CA0028 00021B40
	s_nop 1                                                    // 000000012F44: BF800001
	v_max_f32_e32 v15, v48, v13                                // 000000012F48: 161E1B30
	v_mul_f32_e32 v53, s64, v15                                // 000000012F4C: 0A6A1E40
	v_fma_f32 v144, v144, s64, -v53                            // 000000012F50: D1CB0090 84D48190
	v_fma_f32 v145, v145, s64, -v53                            // 000000012F58: D1CB0091 84D48191
	v_fma_f32 v146, v146, s64, -v53                            // 000000012F60: D1CB0092 84D48192
	v_fma_f32 v147, v147, s64, -v53                            // 000000012F68: D1CB0093 84D48193
	v_fma_f32 v148, v148, s64, -v53                            // 000000012F70: D1CB0094 84D48194
	v_fma_f32 v149, v149, s64, -v53                            // 000000012F78: D1CB0095 84D48195
	v_fma_f32 v150, v150, s64, -v53                            // 000000012F80: D1CB0096 84D48196
	v_fma_f32 v151, v151, s64, -v53                            // 000000012F88: D1CB0097 84D48197
	v_fma_f32 v152, v152, s64, -v53                            // 000000012F90: D1CB0098 84D48198
	v_fma_f32 v153, v153, s64, -v53                            // 000000012F98: D1CB0099 84D48199
	v_fma_f32 v154, v154, s64, -v53                            // 000000012FA0: D1CB009A 84D4819A
	v_fma_f32 v155, v155, s64, -v53                            // 000000012FA8: D1CB009B 84D4819B
	v_fma_f32 v156, v156, s64, -v53                            // 000000012FB0: D1CB009C 84D4819C
	v_fma_f32 v157, v157, s64, -v53                            // 000000012FB8: D1CB009D 84D4819D
	v_fma_f32 v158, v158, s64, -v53                            // 000000012FC0: D1CB009E 84D4819E
	v_fma_f32 v159, v159, s64, -v53                            // 000000012FC8: D1CB009F 84D4819F
	v_exp_f32_e32 v144, v144                                   // 000000012FD0: 7F204190
	v_exp_f32_e32 v145, v145                                   // 000000012FD4: 7F224191
	v_exp_f32_e32 v146, v146                                   // 000000012FD8: 7F244192
	v_exp_f32_e32 v147, v147                                   // 000000012FDC: 7F264193
	v_exp_f32_e32 v148, v148                                   // 000000012FE0: 7F284194
	v_exp_f32_e32 v149, v149                                   // 000000012FE4: 7F2A4195
	v_exp_f32_e32 v150, v150                                   // 000000012FE8: 7F2C4196
	v_exp_f32_e32 v151, v151                                   // 000000012FEC: 7F2E4197
	v_exp_f32_e32 v152, v152                                   // 000000012FF0: 7F304198
	v_exp_f32_e32 v153, v153                                   // 000000012FF4: 7F324199
	v_exp_f32_e32 v154, v154                                   // 000000012FF8: 7F34419A
	v_exp_f32_e32 v155, v155                                   // 000000012FFC: 7F36419B
	v_exp_f32_e32 v156, v156                                   // 000000013000: 7F38419C
	v_exp_f32_e32 v157, v157                                   // 000000013004: 7F3A419D
	v_exp_f32_e32 v158, v158                                   // 000000013008: 7F3C419E
	v_exp_f32_e32 v159, v159                                   // 00000001300C: 7F3E419F
	v_mul_f32_dpp v240, v252, v144 quad_perm:[0,0,0,0] row_mask:0xf bank_mask:0xf// 000000013010: 0BE120FA FF0000FC
	v_mul_f32_dpp v241, v252, v145 quad_perm:[1,1,1,1] row_mask:0xf bank_mask:0xf// 000000013018: 0BE322FA FF0055FC
	v_mul_f32_dpp v242, v252, v146 quad_perm:[2,2,2,2] row_mask:0xf bank_mask:0xf// 000000013020: 0BE524FA FF00AAFC
	v_mul_f32_dpp v243, v252, v147 quad_perm:[3,3,3,3] row_mask:0xf bank_mask:0xf// 000000013028: 0BE726FA FF00FFFC
	v_mul_f32_dpp v244, v253, v148 quad_perm:[0,0,0,0] row_mask:0xf bank_mask:0xf// 000000013030: 0BE928FA FF0000FD
	v_mul_f32_dpp v245, v253, v149 quad_perm:[1,1,1,1] row_mask:0xf bank_mask:0xf// 000000013038: 0BEB2AFA FF0055FD
	v_mul_f32_dpp v246, v253, v150 quad_perm:[2,2,2,2] row_mask:0xf bank_mask:0xf// 000000013040: 0BED2CFA FF00AAFD
	v_mul_f32_dpp v247, v253, v151 quad_perm:[3,3,3,3] row_mask:0xf bank_mask:0xf// 000000013048: 0BEF2EFA FF00FFFD
	v_mul_f32_dpp v248, v254, v152 quad_perm:[0,0,0,0] row_mask:0xf bank_mask:0xf// 000000013050: 0BF130FA FF0000FE
	v_mul_f32_dpp v249, v254, v153 quad_perm:[1,1,1,1] row_mask:0xf bank_mask:0xf// 000000013058: 0BF332FA FF0055FE
	v_mul_f32_dpp v250, v254, v154 quad_perm:[2,2,2,2] row_mask:0xf bank_mask:0xf// 000000013060: 0BF534FA FF00AAFE
	v_mul_f32_dpp v251, v254, v155 quad_perm:[3,3,3,3] row_mask:0xf bank_mask:0xf// 000000013068: 0BF736FA FF00FFFE
	v_mul_f32_dpp v252, v255, v156 quad_perm:[0,0,0,0] row_mask:0xf bank_mask:0xf// 000000013070: 0BF938FA FF0000FF
	v_mul_f32_dpp v253, v255, v157 quad_perm:[1,1,1,1] row_mask:0xf bank_mask:0xf// 000000013078: 0BFB3AFA FF0055FF
	v_mul_f32_dpp v254, v255, v158 quad_perm:[2,2,2,2] row_mask:0xf bank_mask:0xf// 000000013080: 0BFD3CFA FF00AAFF
	v_mul_f32_dpp v255, v255, v159 quad_perm:[3,3,3,3] row_mask:0xf bank_mask:0xf// 000000013088: 0BFF3EFA FF00FFFF
	v_mov_b32_e32 v48, 0x358637bd                              // 000000013090: 7E6002FF 358637BD
	v_max3_f32 v48, |v240|, |v241|, v48                        // 000000013098: D1D30330 04C3E3F0
	v_max3_f32 v48, |v242|, |v243|, v48                        // 0000000130A0: D1D30330 04C3E7F2
	v_max3_f32 v48, |v244|, |v245|, v48                        // 0000000130A8: D1D30330 04C3EBF4
	v_max3_f32 v48, |v246|, |v247|, v48                        // 0000000130B0: D1D30330 04C3EFF6
	v_max3_f32 v48, |v248|, |v249|, v48                        // 0000000130B8: D1D30330 04C3F3F8
	v_max3_f32 v48, |v250|, |v251|, v48                        // 0000000130C0: D1D30330 04C3F7FA
	v_max3_f32 v48, |v252|, |v253|, v48                        // 0000000130C8: D1D30330 04C3FBFC
	v_max3_f32 v48, |v254|, |v255|, v48                        // 0000000130D0: D1D30330 04C3FFFE
	ds_write_b32 v8, v48 offset:20992                          // 0000000130D8: D81A5200 00003008
	v_sub_f32_e32 v51, v13, v15                                // 0000000130E0: 04661F0D
	v_cndmask_b32_e64 v51, v51, 0, s[40:41]                    // 0000000130E4: D1000033 00A10133
	v_mov_b32_e32 v13, v15                                     // 0000000130EC: 7E1A030F
	v_mul_f32_e32 v51, s64, v51                                // 0000000130F0: 0A666640
	v_exp_f32_e32 v51, v51                                     // 0000000130F4: 7E664133
	s_waitcnt lgkmcnt(0)                                       // 0000000130F8: BF8CC07F
	s_barrier                                                  // 0000000130FC: BF8A0000
	ds_read_b32 v64, v7 offset:20992                           // 000000013100: D86C5200 40000007
	ds_read_b32 v65, v7 offset:21056                           // 000000013108: D86C5240 41000007
	ds_read_b32 v66, v7 offset:21120                           // 000000013110: D86C5280 42000007
	ds_read_b32 v67, v7 offset:21184                           // 000000013118: D86C52C0 43000007
	ds_read_b32 v68, v7 offset:21248                           // 000000013120: D86C5300 44000007
	ds_read_b32 v69, v7 offset:21312                           // 000000013128: D86C5340 45000007
	ds_read_b32 v70, v7 offset:21376                           // 000000013130: D86C5380 46000007
	ds_read_b32 v71, v7 offset:21440                           // 000000013138: D86C53C0 47000007
	ds_read_b32 v72, v7 offset:21504                           // 000000013140: D86C5400 48000007
	ds_read_b32 v73, v7 offset:21568                           // 000000013148: D86C5440 49000007
	ds_read_b32 v74, v7 offset:21632                           // 000000013150: D86C5480 4A000007
	ds_read_b32 v75, v7 offset:21696                           // 000000013158: D86C54C0 4B000007
	ds_read_b32 v76, v7 offset:21760                           // 000000013160: D86C5500 4C000007
	ds_read_b32 v77, v7 offset:21824                           // 000000013168: D86C5540 4D000007
	ds_read_b32 v78, v7 offset:21888                           // 000000013170: D86C5580 4E000007
	ds_read_b32 v79, v7 offset:21952                           // 000000013178: D86C55C0 4F000007
	v_mul_f32_e32 v40, v51, v40                                // 000000013180: 0A505133
	v_mov_b32_e32 v15, v144                                    // 000000013184: 7E1E0390
	v_add_f32_e32 v15, v145, v15                               // 000000013188: 021E1F91
	v_add_f32_e32 v15, v146, v15                               // 00000001318C: 021E1F92
	v_add_f32_e32 v15, v147, v15                               // 000000013190: 021E1F93
	v_add_f32_e32 v15, v148, v15                               // 000000013194: 021E1F94
	v_add_f32_e32 v15, v149, v15                               // 000000013198: 021E1F95
	v_add_f32_e32 v15, v150, v15                               // 00000001319C: 021E1F96
	v_add_f32_e32 v15, v151, v15                               // 0000000131A0: 021E1F97
	v_add_f32_e32 v15, v152, v15                               // 0000000131A4: 021E1F98
	v_add_f32_e32 v15, v153, v15                               // 0000000131A8: 021E1F99
	v_add_f32_e32 v15, v154, v15                               // 0000000131AC: 021E1F9A
	v_add_f32_e32 v15, v155, v15                               // 0000000131B0: 021E1F9B
	v_add_f32_e32 v15, v156, v15                               // 0000000131B4: 021E1F9C
	v_add_f32_e32 v15, v157, v15                               // 0000000131B8: 021E1F9D
	v_add_f32_e32 v15, v158, v15                               // 0000000131BC: 021E1F9E
	v_add_f32_e32 v15, v159, v15                               // 0000000131C0: 021E1F9F
	v_add_f32_e32 v40, v15, v40                                // 0000000131C4: 0250510F
	s_waitcnt lgkmcnt(0)                                       // 0000000131C8: BF8CC07F
	v_max3_f32 v48, |v64|, |v65|, v48                          // 0000000131CC: D1D30330 04C28340
	v_max3_f32 v48, |v66|, |v67|, v48                          // 0000000131D4: D1D30330 04C28742
	v_max3_f32 v48, |v68|, |v69|, v48                          // 0000000131DC: D1D30330 04C28B44
	v_max3_f32 v48, |v70|, |v71|, v48                          // 0000000131E4: D1D30330 04C28F46
	v_max3_f32 v48, |v72|, |v73|, v48                          // 0000000131EC: D1D30330 04C29348
	v_max3_f32 v48, |v74|, |v75|, v48                          // 0000000131F4: D1D30330 04C2974A
	v_max3_f32 v48, |v76|, |v77|, v48                          // 0000000131FC: D1D30330 04C29B4C
	v_max3_f32 v48, |v78|, |v79|, v48                          // 000000013204: D1D30330 04C29F4E
	s_nop 2                                                    // 00000001320C: BF800002
	v_rcp_f32_e32 v48, v48                                     // 000000013210: 7E604530
	s_nop 1                                                    // 000000013214: BF800001
	v_mul_f32_e32 v48, 0x43e00000, v48                         // 000000013218: 0A6060FF 43E00000
	v_mul_f32_e32 v144, v48, v240                              // 000000013220: 0B21E130
	v_mul_f32_e32 v145, v48, v241                              // 000000013224: 0B23E330
	v_mul_f32_e32 v146, v48, v242                              // 000000013228: 0B25E530
	v_mul_f32_e32 v147, v48, v243                              // 00000001322C: 0B27E730
	v_mul_f32_e32 v148, v48, v244                              // 000000013230: 0B29E930
	v_mul_f32_e32 v149, v48, v245                              // 000000013234: 0B2BEB30
	v_mul_f32_e32 v150, v48, v246                              // 000000013238: 0B2DED30
	v_mul_f32_e32 v151, v48, v247                              // 00000001323C: 0B2FEF30
	v_mul_f32_e32 v152, v48, v248                              // 000000013240: 0B31F130
	v_mul_f32_e32 v153, v48, v249                              // 000000013244: 0B33F330
	v_mul_f32_e32 v154, v48, v250                              // 000000013248: 0B35F530
	v_mul_f32_e32 v155, v48, v251                              // 00000001324C: 0B37F730
	v_mul_f32_e32 v156, v48, v252                              // 000000013250: 0B39F930
	v_mul_f32_e32 v157, v48, v253                              // 000000013254: 0B3BFB30
	v_mul_f32_e32 v158, v48, v254                              // 000000013258: 0B3DFD30
	v_mul_f32_e32 v159, v48, v255                              // 00000001325C: 0B3FFF30
	v_cvt_pk_fp8_f32 v144, v144, v145                          // 000000013260: D2A20090 00032390
	v_cvt_pk_fp8_f32 v144, v146, v147 op_sel:[0,0,1]           // 000000013268: D2A24090 00032792
	v_cvt_pk_fp8_f32 v145, v148, v149                          // 000000013270: D2A20091 00032B94
	v_cvt_pk_fp8_f32 v145, v150, v151 op_sel:[0,0,1]           // 000000013278: D2A24091 00032F96
	v_cvt_pk_fp8_f32 v146, v152, v153                          // 000000013280: D2A20092 00033398
	v_cvt_pk_fp8_f32 v146, v154, v155 op_sel:[0,0,1]           // 000000013288: D2A24092 0003379A
	v_cvt_pk_fp8_f32 v147, v156, v157                          // 000000013290: D2A20093 00033B9C
	v_cvt_pk_fp8_f32 v147, v158, v159 op_sel:[0,0,1]           // 000000013298: D2A24093 00033F9E
	ds_write_b32 v10, v144 offset:33280                        // 0000000132A0: D81A8200 0000900A
	ds_write_b32 v10, v145 offset:34304                        // 0000000132A8: D81A8600 0000910A
	ds_write_b32 v10, v146 offset:35328                        // 0000000132B0: D81A8A00 0000920A
	ds_write_b32 v10, v147 offset:36352                        // 0000000132B8: D81A8E00 0000930A
	v_add_f32_e32 v224, v224, v192                             // 0000000132C0: 03C181E0
	v_add_f32_e32 v225, v225, v193                             // 0000000132C4: 03C383E1
	v_add_f32_e32 v226, v226, v194                             // 0000000132C8: 03C585E2
	v_add_f32_e32 v227, v227, v195                             // 0000000132CC: 03C787E3
	v_add_f32_e32 v228, v228, v196                             // 0000000132D0: 03C989E4
	v_add_f32_e32 v229, v229, v197                             // 0000000132D4: 03CB8BE5
	v_add_f32_e32 v230, v230, v198                             // 0000000132D8: 03CD8DE6
	v_add_f32_e32 v231, v231, v199                             // 0000000132DC: 03CF8FE7
	v_rcp_f32_e32 v46, v48                                     // 0000000132E0: 7E5C4530
	s_waitcnt lgkmcnt(0)                                       // 0000000132E4: BF8CC07F
	s_barrier                                                  // 0000000132E8: BF8A0000
	ds_read_b64 v[144:145], v9 offset:33280                    // 0000000132EC: D8EC8200 90000009
	ds_read_b64 v[146:147], v9 offset:33408                    // 0000000132F4: D8EC8280 92000009
	ds_read_b64 v[148:149], v9 offset:34304                    // 0000000132FC: D8EC8600 94000009
	ds_read_b64 v[150:151], v9 offset:34432                    // 000000013304: D8EC8680 96000009
	ds_read_b64 v[152:153], v9 offset:35328                    // 00000001330C: D8EC8A00 98000009
	ds_read_b64 v[154:155], v9 offset:35456                    // 000000013314: D8EC8A80 9A000009
	ds_read_b64 v[156:157], v9 offset:36352                    // 00000001331C: D8EC8E00 9C000009
	ds_read_b64 v[158:159], v9 offset:36480                    // 000000013324: D8EC8E80 9E000009
	s_waitcnt vmcnt(15)                                        // 00000001332C: BF8C0F7F
	v_mfma_f32_16x16x32_fp8_fp8 v[176:179], a[64:65], v[112:113], 0// 000000013330: D3F300B0 0A02E140
	buffer_load_dwordx4 a[112:115], v34, s[20:23], 0 offen offset:1024// 000000013338: E05C1400 80857022
	v_mfma_f32_16x16x32_fp8_fp8 v[176:179], a[66:67], v[114:115], v[176:179]// 000000013340: D3F300B0 0EC2E542
	v_mfma_f32_16x16x32_fp8_fp8 v[176:179], a[68:69], v[116:117], v[176:179]// 000000013348: D3F300B0 0EC2E944
	v_mfma_f32_16x16x32_fp8_fp8 v[176:179], a[70:71], v[118:119], v[176:179]// 000000013350: D3F300B0 0EC2ED46
	v_mfma_f32_16x16x32_fp8_fp8 v[176:179], a[72:73], v[120:121], v[176:179]// 000000013358: D3F300B0 0EC2F148
	buffer_load_dwordx4 a[116:119], v35, s[20:23], 0 offen offset:1024// 000000013360: E05C1400 80857423
	v_mfma_f32_16x16x32_fp8_fp8 v[176:179], a[74:75], v[122:123], v[176:179]// 000000013368: D3F300B0 0EC2F54A
	v_mfma_f32_16x16x32_fp8_fp8 v[176:179], a[76:77], v[124:125], v[176:179]// 000000013370: D3F300B0 0EC2F94C
	v_mfma_f32_16x16x32_fp8_fp8 v[176:179], a[78:79], v[126:127], v[176:179]// 000000013378: D3F300B0 0EC2FD4E
	v_mfma_f32_16x16x32_fp8_fp8 v[180:183], a[80:81], v[112:113], 0// 000000013380: D3F300B4 0A02E150
	buffer_load_dwordx4 a[120:123], v36, s[20:23], 0 offen offset:1024// 000000013388: E05C1400 80857824
	v_mfma_f32_16x16x32_fp8_fp8 v[180:183], a[82:83], v[114:115], v[180:183]// 000000013390: D3F300B4 0ED2E552
	v_mfma_f32_16x16x32_fp8_fp8 v[180:183], a[84:85], v[116:117], v[180:183]// 000000013398: D3F300B4 0ED2E954
	v_mfma_f32_16x16x32_fp8_fp8 v[180:183], a[86:87], v[118:119], v[180:183]// 0000000133A0: D3F300B4 0ED2ED56
	v_mfma_f32_16x16x32_fp8_fp8 v[180:183], a[88:89], v[120:121], v[180:183]// 0000000133A8: D3F300B4 0ED2F158
	buffer_load_dwordx4 a[124:127], v37, s[20:23], 0 offen offset:1024// 0000000133B0: E05C1400 80857C25
	v_mfma_f32_16x16x32_fp8_fp8 v[180:183], a[90:91], v[122:123], v[180:183]// 0000000133B8: D3F300B4 0ED2F55A
	v_mfma_f32_16x16x32_fp8_fp8 v[180:183], a[92:93], v[124:125], v[180:183]// 0000000133C0: D3F300B4 0ED2F95C
	s_lshr_b32 s57, s70, 4                                     // 0000000133C8: 8F398446
	s_add_u32 s57, 48, s57                                     // 0000000133CC: 803939B0
	v_mfma_f32_16x16x32_fp8_fp8 v[180:183], a[94:95], v[126:127], v[180:183]// 0000000133D0: D3F300B4 0ED2FD5E
	s_cmp_ge_u32 s57, s73                                      // 0000000133D8: BF094939
	s_cselect_b32 s56, 0, s56                                  // 0000000133DC: 85383880
	v_mfma_f32_16x16x32_fp8_fp8 v[184:187], a[64:65], v[128:129], 0// 0000000133E0: D3F300B8 0A030140
	v_mfma_f32_16x16x32_fp8_fp8 v[184:187], a[66:67], v[130:131], v[184:187]// 0000000133E8: D3F300B8 0EE30542
	v_mfma_f32_16x16x32_fp8_fp8 v[184:187], a[68:69], v[132:133], v[184:187]// 0000000133F0: D3F300B8 0EE30944
	v_mfma_f32_16x16x32_fp8_fp8 v[184:187], a[70:71], v[134:135], v[184:187]// 0000000133F8: D3F300B8 0EE30D46
	v_mfma_f32_16x16x32_fp8_fp8 v[184:187], a[72:73], v[136:137], v[184:187]// 000000013400: D3F300B8 0EE31148
	v_mfma_f32_16x16x32_fp8_fp8 v[184:187], a[74:75], v[138:139], v[184:187]// 000000013408: D3F300B8 0EE3154A
	v_mfma_f32_16x16x32_fp8_fp8 v[184:187], a[76:77], v[140:141], v[184:187]// 000000013410: D3F300B8 0EE3194C
	v_mfma_f32_16x16x32_fp8_fp8 v[184:187], a[78:79], v[142:143], v[184:187]// 000000013418: D3F300B8 0EE31D4E
	v_mfma_f32_16x16x32_fp8_fp8 v[188:191], a[80:81], v[128:129], 0// 000000013420: D3F300BC 0A030150
	v_mfma_f32_16x16x32_fp8_fp8 v[188:191], a[82:83], v[130:131], v[188:191]// 000000013428: D3F300BC 0EF30552
	v_mfma_f32_16x16x32_fp8_fp8 v[188:191], a[84:85], v[132:133], v[188:191]// 000000013430: D3F300BC 0EF30954
	v_mfma_f32_16x16x32_fp8_fp8 v[188:191], a[86:87], v[134:135], v[188:191]// 000000013438: D3F300BC 0EF30D56
	v_mfma_f32_16x16x32_fp8_fp8 v[188:191], a[88:89], v[136:137], v[188:191]// 000000013440: D3F300BC 0EF31158
	v_mfma_f32_16x16x32_fp8_fp8 v[188:191], a[90:91], v[138:139], v[188:191]// 000000013448: D3F300BC 0EF3155A
	v_mfma_f32_16x16x32_fp8_fp8 v[188:191], a[92:93], v[140:141], v[188:191]// 000000013450: D3F300BC 0EF3195C
	v_mfma_f32_16x16x32_fp8_fp8 v[188:191], a[94:95], v[142:143], v[188:191]// 000000013458: D3F300BC 0EF31D5E
	v_mfma_f32_16x16x32_fp8_fp8 v[192:195], a[64:65], v[144:145], 0// 000000013460: D3F300C0 0A032140
	v_mfma_f32_16x16x32_fp8_fp8 v[192:195], a[66:67], v[146:147], v[192:195]// 000000013468: D3F300C0 0F032542
	v_mfma_f32_16x16x32_fp8_fp8 v[192:195], a[68:69], v[148:149], v[192:195]// 000000013470: D3F300C0 0F032944
	v_mfma_f32_16x16x32_fp8_fp8 v[192:195], a[70:71], v[150:151], v[192:195]// 000000013478: D3F300C0 0F032D46
	v_mfma_f32_16x16x32_fp8_fp8 v[192:195], a[72:73], v[152:153], v[192:195]// 000000013480: D3F300C0 0F033148
	v_mfma_f32_16x16x32_fp8_fp8 v[192:195], a[74:75], v[154:155], v[192:195]// 000000013488: D3F300C0 0F03354A
	v_mfma_f32_16x16x32_fp8_fp8 v[192:195], a[76:77], v[156:157], v[192:195]// 000000013490: D3F300C0 0F03394C
	v_mfma_f32_16x16x32_fp8_fp8 v[192:195], a[78:79], v[158:159], v[192:195]// 000000013498: D3F300C0 0F033D4E
	v_mfma_f32_16x16x32_fp8_fp8 v[196:199], a[80:81], v[144:145], 0// 0000000134A0: D3F300C4 0A032150
	v_mfma_f32_16x16x32_fp8_fp8 v[196:199], a[82:83], v[146:147], v[196:199]// 0000000134A8: D3F300C4 0F132552
	v_mfma_f32_16x16x32_fp8_fp8 v[196:199], a[84:85], v[148:149], v[196:199]// 0000000134B0: D3F300C4 0F132954
	v_mfma_f32_16x16x32_fp8_fp8 v[196:199], a[86:87], v[150:151], v[196:199]// 0000000134B8: D3F300C4 0F132D56
	v_mfma_f32_16x16x32_fp8_fp8 v[196:199], a[88:89], v[152:153], v[196:199]// 0000000134C0: D3F300C4 0F133158
	v_mfma_f32_16x16x32_fp8_fp8 v[196:199], a[90:91], v[154:155], v[196:199]// 0000000134C8: D3F300C4 0F13355A
	v_mfma_f32_16x16x32_fp8_fp8 v[196:199], a[92:93], v[156:157], v[196:199]// 0000000134D0: D3F300C4 0F13395C
	v_mfma_f32_16x16x32_fp8_fp8 v[196:199], a[94:95], v[158:159], v[196:199]// 0000000134D8: D3F300C4 0F133D5E
	v_add_u32_e32 v1, s56, v1                                  // 0000000134E0: 68020238
	s_addk_i32 s70, 0x100                                      // 0000000134E4: B7460100
	s_cmp_lt_i32 s70, s71                                      // 0000000134E8: BF044746
	s_cbranch_scc0 label_3E83                                  // 0000000134EC: BF84F9C7
	s_waitcnt vmcnt(8) lgkmcnt(0)                              // 0000000134F0: BF8C0078
	v_mul_u32_u24_dpp v64, v16, v54 row_newbcast:0 row_mask:0xf bank_mask:0xf// 0000000134F4: 10806CFA FF015010
	v_mul_u32_u24_dpp v65, v16, v54 row_newbcast:4 row_mask:0xf bank_mask:0xf// 0000000134FC: 10826CFA FF015410
	v_mul_u32_u24_dpp v66, v16, v54 row_newbcast:8 row_mask:0xf bank_mask:0xf// 000000013504: 10846CFA FF015810
	v_mul_u32_u24_dpp v67, v16, v54 row_newbcast:12 row_mask:0xf bank_mask:0xf// 00000001350C: 10866CFA FF015C10
	v_add_u32_e32 v22, v64, v5                                 // 000000013514: 682C0B40
	v_add_u32_e32 v23, v65, v5                                 // 000000013518: 682E0B41
	v_add_u32_e32 v24, v66, v5                                 // 00000001351C: 68300B42
	v_add_u32_e32 v25, v67, v5                                 // 000000013520: 68320B43
	v_mul_u32_u24_dpp v64, v16, v63 quad_perm:[0,0,0,0] row_mask:0xf bank_mask:0xf// 000000013524: 10807EFA FF000010
	v_add_u32_e32 v2, v64, v59                                 // 00000001352C: 68047740
	v_mul_u32_u24_dpp v64, v16, v63 quad_perm:[0,0,0,0] row_mask:0xf bank_mask:0xf// 000000013530: 10807EFA FF000010
	v_add_u32_e32 v55, v64, v60                                // 000000013538: 686E7940
	v_mfma_f32_16x16x32_fp8_fp8 v[112:115], a[32:33], v[80:81], 0// 00000001353C: D3F30070 0A02A120
	buffer_load_dwordx4 a[0:3], v22, s[16:19], 0 offen         // 000000013544: E05C1000 80840016
	v_mfma_f32_16x16x32_fp8_fp8 v[112:115], a[34:35], v[82:83], v[112:115]// 00000001354C: D3F30070 0DC2A522
	v_mfma_f32_16x16x32_fp8_fp8 v[112:115], a[36:37], v[84:85], v[112:115]// 000000013554: D3F30070 0DC2A924
	buffer_load_dword v17, v1, s[24:27], 0 offen               // 00000001355C: E0501000 80061101
	v_mfma_f32_16x16x32_fp8_fp8 v[112:115], a[38:39], v[86:87], v[112:115]// 000000013564: D3F30070 0DC2AD26
	v_mfma_f32_16x16x32_fp8_fp8 v[116:119], a[40:41], v[80:81], 0// 00000001356C: D3F30074 0A02A128
	buffer_load_dwordx4 a[4:7], v22, s[16:19], 0 offen offset:1024// 000000013574: E05C1400 80840416
	v_mfma_f32_16x16x32_fp8_fp8 v[116:119], a[42:43], v[82:83], v[116:119]// 00000001357C: D3F30074 0DD2A52A
	v_mfma_f32_16x16x32_fp8_fp8 v[116:119], a[44:45], v[84:85], v[116:119]// 000000013584: D3F30074 0DD2A92C
	v_mfma_f32_16x16x32_fp8_fp8 v[116:119], a[46:47], v[86:87], v[116:119]// 00000001358C: D3F30074 0DD2AD2E
	v_mfma_f32_16x16x32_fp8_fp8 v[120:123], a[48:49], v[80:81], 0// 000000013594: D3F30078 0A02A130
	buffer_load_dwordx4 a[8:11], v23, s[16:19], 0 offen        // 00000001359C: E05C1000 80840817
	v_mfma_f32_16x16x32_fp8_fp8 v[120:123], a[50:51], v[82:83], v[120:123]// 0000000135A4: D3F30078 0DE2A532
	v_mfma_f32_16x16x32_fp8_fp8 v[120:123], a[52:53], v[84:85], v[120:123]// 0000000135AC: D3F30078 0DE2A934
	v_mfma_f32_16x16x32_fp8_fp8 v[120:123], a[54:55], v[86:87], v[120:123]// 0000000135B4: D3F30078 0DE2AD36
	v_mfma_f32_16x16x32_fp8_fp8 v[124:127], a[56:57], v[80:81], 0// 0000000135BC: D3F3007C 0A02A138
	buffer_load_dwordx4 a[12:15], v23, s[16:19], 0 offen offset:1024// 0000000135C4: E05C1400 80840C17
	v_mfma_f32_16x16x32_fp8_fp8 v[124:127], a[58:59], v[82:83], v[124:127]// 0000000135CC: D3F3007C 0DF2A53A
	v_mfma_f32_16x16x32_fp8_fp8 v[124:127], a[60:61], v[84:85], v[124:127]// 0000000135D4: D3F3007C 0DF2A93C
	v_mfma_f32_16x16x32_fp8_fp8 v[124:127], a[62:63], v[86:87], v[124:127]// 0000000135DC: D3F3007C 0DF2AD3E
	v_mfma_f32_16x16x32_fp8_fp8 v[128:131], a[32:33], v[88:89], 0// 0000000135E4: D3F30080 0A02B120
	v_mfma_f32_16x16x32_fp8_fp8 v[128:131], a[34:35], v[90:91], v[128:131]// 0000000135EC: D3F30080 0E02B522
	v_mfma_f32_16x16x32_fp8_fp8 v[128:131], a[36:37], v[92:93], v[128:131]// 0000000135F4: D3F30080 0E02B924
	v_mfma_f32_16x16x32_fp8_fp8 v[128:131], a[38:39], v[94:95], v[128:131]// 0000000135FC: D3F30080 0E02BD26
	v_mfma_f32_16x16x32_fp8_fp8 v[132:135], a[40:41], v[88:89], 0// 000000013604: D3F30084 0A02B128
	v_mfma_f32_16x16x32_fp8_fp8 v[132:135], a[42:43], v[90:91], v[132:135]// 00000001360C: D3F30084 0E12B52A
	v_mfma_f32_16x16x32_fp8_fp8 v[132:135], a[44:45], v[92:93], v[132:135]// 000000013614: D3F30084 0E12B92C
	v_mfma_f32_16x16x32_fp8_fp8 v[132:135], a[46:47], v[94:95], v[132:135]// 00000001361C: D3F30084 0E12BD2E
	v_mfma_f32_16x16x32_fp8_fp8 v[136:139], a[48:49], v[88:89], 0// 000000013624: D3F30088 0A02B130
	v_mfma_f32_16x16x32_fp8_fp8 v[136:139], a[50:51], v[90:91], v[136:139]// 00000001362C: D3F30088 0E22B532
	v_mfma_f32_16x16x32_fp8_fp8 v[136:139], a[52:53], v[92:93], v[136:139]// 000000013634: D3F30088 0E22B934
	v_mfma_f32_16x16x32_fp8_fp8 v[136:139], a[54:55], v[94:95], v[136:139]// 00000001363C: D3F30088 0E22BD36
	v_mfma_f32_16x16x32_fp8_fp8 v[140:143], a[56:57], v[88:89], 0// 000000013644: D3F3008C 0A02B138
	v_mfma_f32_16x16x32_fp8_fp8 v[140:143], a[58:59], v[90:91], v[140:143]// 00000001364C: D3F3008C 0E32B53A
	v_mfma_f32_16x16x32_fp8_fp8 v[140:143], a[60:61], v[92:93], v[140:143]// 000000013654: D3F3008C 0E32B93C
	v_mfma_f32_16x16x32_fp8_fp8 v[140:143], a[62:63], v[94:95], v[140:143]// 00000001365C: D3F3008C 0E32BD3E
	v_mfma_f32_16x16x32_fp8_fp8 v[144:147], a[32:33], v[96:97], 0// 000000013664: D3F30090 0A02C120
	v_mfma_f32_16x16x32_fp8_fp8 v[144:147], a[34:35], v[98:99], v[144:147]// 00000001366C: D3F30090 0E42C522
	v_mfma_f32_16x16x32_fp8_fp8 v[144:147], a[36:37], v[100:101], v[144:147]// 000000013674: D3F30090 0E42C924
	v_mfma_f32_16x16x32_fp8_fp8 v[144:147], a[38:39], v[102:103], v[144:147]// 00000001367C: D3F30090 0E42CD26
	v_mfma_f32_16x16x32_fp8_fp8 v[148:151], a[40:41], v[96:97], 0// 000000013684: D3F30094 0A02C128
	v_mfma_f32_16x16x32_fp8_fp8 v[148:151], a[42:43], v[98:99], v[148:151]// 00000001368C: D3F30094 0E52C52A
	v_mfma_f32_16x16x32_fp8_fp8 v[148:151], a[44:45], v[100:101], v[148:151]// 000000013694: D3F30094 0E52C92C
	v_mfma_f32_16x16x32_fp8_fp8 v[148:151], a[46:47], v[102:103], v[148:151]// 00000001369C: D3F30094 0E52CD2E
	v_mfma_f32_16x16x32_fp8_fp8 v[152:155], a[48:49], v[96:97], 0// 0000000136A4: D3F30098 0A02C130
	v_mfma_f32_16x16x32_fp8_fp8 v[152:155], a[50:51], v[98:99], v[152:155]// 0000000136AC: D3F30098 0E62C532
	v_mfma_f32_16x16x32_fp8_fp8 v[152:155], a[52:53], v[100:101], v[152:155]// 0000000136B4: D3F30098 0E62C934
	v_mfma_f32_16x16x32_fp8_fp8 v[152:155], a[54:55], v[102:103], v[152:155]// 0000000136BC: D3F30098 0E62CD36
	v_mfma_f32_16x16x32_fp8_fp8 v[156:159], a[56:57], v[96:97], 0// 0000000136C4: D3F3009C 0A02C138
	v_mfma_f32_16x16x32_fp8_fp8 v[156:159], a[58:59], v[98:99], v[156:159]// 0000000136CC: D3F3009C 0E72C53A
	v_mfma_f32_16x16x32_fp8_fp8 v[156:159], a[60:61], v[100:101], v[156:159]// 0000000136D4: D3F3009C 0E72C93C
	v_mfma_f32_16x16x32_fp8_fp8 v[156:159], a[62:63], v[102:103], v[156:159]// 0000000136DC: D3F3009C 0E72CD3E
	buffer_load_dword v42, v2, s[32:35], 0 offen               // 0000000136E4: E0501000 80082A02
	v_mov_b32_dpp v64, v43 row_shr:4 row_mask:0xf bank_mask:0xf// 0000000136EC: 7E8002FA FF01142B
	v_mov_b32_dpp v65, v43 row_shl:4 row_mask:0xf bank_mask:0xf// 0000000136F4: 7E8202FA FF01042B
	v_cndmask_b32_e64 v248, v43, v64, s[44:45]                 // 0000000136FC: D10000F8 00B2812B
	v_cndmask_b32_e64 v249, v65, v43, s[44:45]                 // 000000013704: D10000F9 00B25741
	v_mov_b32_dpp v64, v248 row_shr:8 row_mask:0xf bank_mask:0xf// 00000001370C: 7E8002FA FF0118F8
	v_mov_b32_dpp v65, v248 row_shl:8 row_mask:0xf bank_mask:0xf// 000000013714: 7E8202FA FF0108F8
	v_mov_b32_dpp v66, v249 row_shr:8 row_mask:0xf bank_mask:0xf// 00000001371C: 7E8402FA FF0118F9
	v_mov_b32_dpp v67, v249 row_shl:8 row_mask:0xf bank_mask:0xf// 000000013724: 7E8602FA FF0108F9
	v_mov_b32_e32 v68, v248                                    // 00000001372C: 7E8803F8
	v_mov_b32_e32 v69, v249                                    // 000000013730: 7E8A03F9
	v_cndmask_b32_e64 v248, v68, v64, s[42:43]                 // 000000013734: D10000F8 00AA8144
	v_cndmask_b32_e64 v250, v68, v65, s[78:79]                 // 00000001373C: D10000FA 013A8344
	v_cndmask_b32_e64 v249, v69, v66, s[42:43]                 // 000000013744: D10000F9 00AA8545
	v_cndmask_b32_e64 v251, v69, v67, s[78:79]                 // 00000001374C: D10000FB 013A8745
	v_mov_b32_dpp v64, v58 row_shr:4 row_mask:0xf bank_mask:0xf// 000000013754: 7E8002FA FF01143A
	v_mov_b32_dpp v65, v58 row_shl:4 row_mask:0xf bank_mask:0xf// 00000001375C: 7E8202FA FF01043A
	v_cndmask_b32_e64 v252, v58, v64, s[44:45]                 // 000000013764: D10000FC 00B2813A
	v_cndmask_b32_e64 v253, v65, v58, s[44:45]                 // 00000001376C: D10000FD 00B27541
	v_mov_b32_dpp v64, v252 row_shr:8 row_mask:0xf bank_mask:0xf// 000000013774: 7E8002FA FF0118FC
	v_mov_b32_dpp v65, v252 row_shl:8 row_mask:0xf bank_mask:0xf// 00000001377C: 7E8202FA FF0108FC
	v_mov_b32_dpp v66, v253 row_shr:8 row_mask:0xf bank_mask:0xf// 000000013784: 7E8402FA FF0118FD
	v_mov_b32_dpp v67, v253 row_shl:8 row_mask:0xf bank_mask:0xf// 00000001378C: 7E8602FA FF0108FD
	v_mov_b32_e32 v68, v252                                    // 000000013794: 7E8803FC
	v_mov_b32_e32 v69, v253                                    // 000000013798: 7E8A03FD
	v_cndmask_b32_e64 v252, v68, v64, s[42:43]                 // 00000001379C: D10000FC 00AA8144
	v_cndmask_b32_e64 v254, v68, v65, s[78:79]                 // 0000000137A4: D10000FE 013A8344
	v_cndmask_b32_e64 v253, v69, v66, s[42:43]                 // 0000000137AC: D10000FD 00AA8545
	v_cndmask_b32_e64 v255, v69, v67, s[78:79]                 // 0000000137B4: D10000FF 013A8745
	buffer_load_dword v57, v55, s[36:39], 0 offen              // 0000000137BC: E0501000 80093937
	v_mul_f32_e32 v112, v18, v112                              // 0000000137C4: 0AE0E112
	v_mul_f32_e32 v113, v18, v113                              // 0000000137C8: 0AE2E312
	v_mul_f32_e32 v114, v18, v114                              // 0000000137CC: 0AE4E512
	v_mul_f32_e32 v115, v18, v115                              // 0000000137D0: 0AE6E712
	v_mul_f32_e32 v116, v18, v116                              // 0000000137D4: 0AE8E912
	v_mul_f32_e32 v117, v18, v117                              // 0000000137D8: 0AEAEB12
	v_mul_f32_e32 v118, v18, v118                              // 0000000137DC: 0AECED12
	v_mul_f32_e32 v119, v18, v119                              // 0000000137E0: 0AEEEF12
	v_mul_f32_e32 v120, v18, v120                              // 0000000137E4: 0AF0F112
	v_mul_f32_e32 v121, v18, v121                              // 0000000137E8: 0AF2F312
	v_mul_f32_e32 v122, v18, v122                              // 0000000137EC: 0AF4F512
	v_mul_f32_e32 v123, v18, v123                              // 0000000137F0: 0AF6F712
	v_mul_f32_e32 v124, v18, v124                              // 0000000137F4: 0AF8F912
	v_mul_f32_e32 v125, v18, v125                              // 0000000137F8: 0AFAFB12
	v_mul_f32_e32 v126, v18, v126                              // 0000000137FC: 0AFCFD12
	v_mul_f32_e32 v127, v18, v127                              // 000000013800: 0AFEFF12
	buffer_load_dwordx4 a[16:19], v24, s[16:19], 0 offen       // 000000013804: E05C1000 80841018
	v_mul_f32_dpp v112, v248, v112 quad_perm:[0,0,0,0] row_mask:0xf bank_mask:0xf// 00000001380C: 0AE0E0FA FF0000F8
	v_mul_f32_dpp v113, v248, v113 quad_perm:[1,1,1,1] row_mask:0xf bank_mask:0xf// 000000013814: 0AE2E2FA FF0055F8
	v_mul_f32_dpp v114, v248, v114 quad_perm:[2,2,2,2] row_mask:0xf bank_mask:0xf// 00000001381C: 0AE4E4FA FF00AAF8
	v_mul_f32_dpp v115, v248, v115 quad_perm:[3,3,3,3] row_mask:0xf bank_mask:0xf// 000000013824: 0AE6E6FA FF00FFF8
	v_mul_f32_dpp v116, v249, v116 quad_perm:[0,0,0,0] row_mask:0xf bank_mask:0xf// 00000001382C: 0AE8E8FA FF0000F9
	v_mul_f32_dpp v117, v249, v117 quad_perm:[1,1,1,1] row_mask:0xf bank_mask:0xf// 000000013834: 0AEAEAFA FF0055F9
	v_mul_f32_dpp v118, v249, v118 quad_perm:[2,2,2,2] row_mask:0xf bank_mask:0xf// 00000001383C: 0AECECFA FF00AAF9
	v_mul_f32_dpp v119, v249, v119 quad_perm:[3,3,3,3] row_mask:0xf bank_mask:0xf// 000000013844: 0AEEEEFA FF00FFF9
	v_mul_f32_dpp v120, v250, v120 quad_perm:[0,0,0,0] row_mask:0xf bank_mask:0xf// 00000001384C: 0AF0F0FA FF0000FA
	v_mul_f32_dpp v121, v250, v121 quad_perm:[1,1,1,1] row_mask:0xf bank_mask:0xf// 000000013854: 0AF2F2FA FF0055FA
	v_mul_f32_dpp v122, v250, v122 quad_perm:[2,2,2,2] row_mask:0xf bank_mask:0xf// 00000001385C: 0AF4F4FA FF00AAFA
	v_mul_f32_dpp v123, v250, v123 quad_perm:[3,3,3,3] row_mask:0xf bank_mask:0xf// 000000013864: 0AF6F6FA FF00FFFA
	v_mul_f32_dpp v124, v251, v124 quad_perm:[0,0,0,0] row_mask:0xf bank_mask:0xf// 00000001386C: 0AF8F8FA FF0000FB
	v_mul_f32_dpp v125, v251, v125 quad_perm:[1,1,1,1] row_mask:0xf bank_mask:0xf// 000000013874: 0AFAFAFA FF0055FB
	v_mul_f32_dpp v126, v251, v126 quad_perm:[2,2,2,2] row_mask:0xf bank_mask:0xf// 00000001387C: 0AFCFCFA FF00AAFB
	v_mul_f32_dpp v127, v251, v127 quad_perm:[3,3,3,3] row_mask:0xf bank_mask:0xf// 000000013884: 0AFEFEFA FF00FFFB
	buffer_load_dwordx4 a[20:23], v24, s[16:19], 0 offen offset:1024// 00000001388C: E05C1400 80841418
	v_mov_b32_e32 v48, v112                                    // 000000013894: 7E600370
	v_max3_f32 v48, v112, v113, v48                            // 000000013898: D1D30030 04C2E370
	v_max3_f32 v48, v114, v115, v48                            // 0000000138A0: D1D30030 04C2E772
	v_max3_f32 v48, v116, v117, v48                            // 0000000138A8: D1D30030 04C2EB74
	v_max3_f32 v48, v118, v119, v48                            // 0000000138B0: D1D30030 04C2EF76
	v_max3_f32 v48, v120, v121, v48                            // 0000000138B8: D1D30030 04C2F378
	v_max3_f32 v48, v122, v123, v48                            // 0000000138C0: D1D30030 04C2F77A
	v_max3_f32 v48, v124, v125, v48                            // 0000000138C8: D1D30030 04C2FB7C
	v_max3_f32 v48, v126, v127, v48                            // 0000000138D0: D1D30030 04C2FF7E
	ds_write_b32 v8, v48 offset:16896                          // 0000000138D8: D81A4200 00003008
	buffer_load_dwordx4 a[24:27], v25, s[16:19], 0 offen       // 0000000138E0: E05C1000 80841819
	v_mul_u32_u24_dpp v64, v16, v54 row_newbcast:1 row_mask:0xf bank_mask:0xf// 0000000138E8: 10806CFA FF015110
	v_mul_u32_u24_dpp v65, v16, v54 row_newbcast:5 row_mask:0xf bank_mask:0xf// 0000000138F0: 10826CFA FF015510
	v_mul_u32_u24_dpp v66, v16, v54 row_newbcast:9 row_mask:0xf bank_mask:0xf// 0000000138F8: 10846CFA FF015910
	v_mul_u32_u24_dpp v67, v16, v54 row_newbcast:13 row_mask:0xf bank_mask:0xf// 000000013900: 10866CFA FF015D10
	v_add_u32_e32 v30, v64, v6                                 // 000000013908: 683C0D40
	v_add_u32_e32 v31, v65, v6                                 // 00000001390C: 683E0D41
	v_add_u32_e32 v32, v66, v6                                 // 000000013910: 68400D42
	v_add_u32_e32 v33, v67, v6                                 // 000000013914: 68420D43
	v_mul_f32_e32 v208, v49, v208                              // 000000013918: 0BA1A131
	v_mul_f32_e32 v209, v49, v209                              // 00000001391C: 0BA3A331
	v_mul_f32_e32 v210, v49, v210                              // 000000013920: 0BA5A531
	v_mul_f32_e32 v211, v49, v211                              // 000000013924: 0BA7A731
	v_mul_f32_e32 v212, v49, v212                              // 000000013928: 0BA9A931
	v_mul_f32_e32 v213, v49, v213                              // 00000001392C: 0BABAB31
	v_mul_f32_e32 v214, v49, v214                              // 000000013930: 0BADAD31
	v_mul_f32_e32 v215, v49, v215                              // 000000013934: 0BAFAF31
	s_waitcnt lgkmcnt(0)                                       // 000000013938: BF8CC07F
	s_barrier                                                  // 00000001393C: BF8A0000
	ds_read_b32 v64, v7 offset:16896                           // 000000013940: D86C4200 40000007
	ds_read_b32 v65, v7 offset:16960                           // 000000013948: D86C4240 41000007
	ds_read_b32 v66, v7 offset:17024                           // 000000013950: D86C4280 42000007
	ds_read_b32 v67, v7 offset:17088                           // 000000013958: D86C42C0 43000007
	ds_read_b32 v68, v7 offset:17152                           // 000000013960: D86C4300 44000007
	ds_read_b32 v69, v7 offset:17216                           // 000000013968: D86C4340 45000007
	ds_read_b32 v70, v7 offset:17280                           // 000000013970: D86C4380 46000007
	ds_read_b32 v71, v7 offset:17344                           // 000000013978: D86C43C0 47000007
	ds_read_b32 v72, v7 offset:17408                           // 000000013980: D86C4400 48000007
	ds_read_b32 v73, v7 offset:17472                           // 000000013988: D86C4440 49000007
	ds_read_b32 v74, v7 offset:17536                           // 000000013990: D86C4480 4A000007
	ds_read_b32 v75, v7 offset:17600                           // 000000013998: D86C44C0 4B000007
	ds_read_b32 v76, v7 offset:17664                           // 0000000139A0: D86C4500 4C000007
	ds_read_b32 v77, v7 offset:17728                           // 0000000139A8: D86C4540 4D000007
	ds_read_b32 v78, v7 offset:17792                           // 0000000139B0: D86C4580 4E000007
	ds_read_b32 v79, v7 offset:17856                           // 0000000139B8: D86C45C0 4F000007
	buffer_load_dwordx4 a[28:31], v25, s[16:19], 0 offen offset:1024// 0000000139C0: E05C1400 80841C19
	v_mul_f32_e32 v176, v44, v176                              // 0000000139C8: 0B61612C
	v_mul_f32_e32 v177, v44, v177                              // 0000000139CC: 0B63632C
	v_mul_f32_e32 v178, v44, v178                              // 0000000139D0: 0B65652C
	v_mul_f32_e32 v179, v44, v179                              // 0000000139D4: 0B67672C
	v_mul_f32_e32 v180, v44, v180                              // 0000000139D8: 0B69692C
	v_mul_f32_e32 v181, v44, v181                              // 0000000139DC: 0B6B6B2C
	v_mul_f32_e32 v182, v44, v182                              // 0000000139E0: 0B6D6D2C
	v_mul_f32_e32 v183, v44, v183                              // 0000000139E4: 0B6F6F2C
	s_waitcnt lgkmcnt(0)                                       // 0000000139E8: BF8CC07F
	v_max3_f32 v48, v64, v65, v48                              // 0000000139EC: D1D30030 04C28340
	v_max3_f32 v48, v66, v67, v48                              // 0000000139F4: D1D30030 04C28742
	v_max3_f32 v48, v68, v69, v48                              // 0000000139FC: D1D30030 04C28B44
	v_max3_f32 v48, v70, v71, v48                              // 000000013A04: D1D30030 04C28F46
	v_max3_f32 v48, v72, v73, v48                              // 000000013A0C: D1D30030 04C29348
	v_max3_f32 v48, v74, v75, v48                              // 000000013A14: D1D30030 04C2974A
	v_max3_f32 v48, v76, v77, v48                              // 000000013A1C: D1D30030 04C29B4C
	v_max3_f32 v48, v78, v79, v48                              // 000000013A24: D1D30030 04C29F4E
	buffer_load_dwordx4 a[64:67], v30, s[20:23], 0 offen       // 000000013A2C: E05C1000 8085401E
	v_mov_b32_e32 v64, 0xff800000                              // 000000013A34: 7E8002FF FF800000
	v_cmp_eq_u32_e64 s[40:41], v64, v11                        // 000000013A3C: D0CA0028 00021740
	s_nop 1                                                    // 000000013A44: BF800001
	v_max_f32_e32 v15, v48, v11                                // 000000013A48: 161E1730
	v_mul_f32_e32 v53, s64, v15                                // 000000013A4C: 0A6A1E40
	v_fma_f32 v112, v112, s64, -v53                            // 000000013A50: D1CB0070 84D48170
	v_fma_f32 v113, v113, s64, -v53                            // 000000013A58: D1CB0071 84D48171
	v_fma_f32 v114, v114, s64, -v53                            // 000000013A60: D1CB0072 84D48172
	v_fma_f32 v115, v115, s64, -v53                            // 000000013A68: D1CB0073 84D48173
	v_fma_f32 v116, v116, s64, -v53                            // 000000013A70: D1CB0074 84D48174
	v_fma_f32 v117, v117, s64, -v53                            // 000000013A78: D1CB0075 84D48175
	v_fma_f32 v118, v118, s64, -v53                            // 000000013A80: D1CB0076 84D48176
	v_fma_f32 v119, v119, s64, -v53                            // 000000013A88: D1CB0077 84D48177
	v_fma_f32 v120, v120, s64, -v53                            // 000000013A90: D1CB0078 84D48178
	v_fma_f32 v121, v121, s64, -v53                            // 000000013A98: D1CB0079 84D48179
	v_fma_f32 v122, v122, s64, -v53                            // 000000013AA0: D1CB007A 84D4817A
	v_fma_f32 v123, v123, s64, -v53                            // 000000013AA8: D1CB007B 84D4817B
	v_fma_f32 v124, v124, s64, -v53                            // 000000013AB0: D1CB007C 84D4817C
	v_fma_f32 v125, v125, s64, -v53                            // 000000013AB8: D1CB007D 84D4817D
	v_fma_f32 v126, v126, s64, -v53                            // 000000013AC0: D1CB007E 84D4817E
	v_fma_f32 v127, v127, s64, -v53                            // 000000013AC8: D1CB007F 84D4817F
	buffer_load_dwordx4 a[68:71], v31, s[20:23], 0 offen       // 000000013AD0: E05C1000 8085441F
	v_exp_f32_e32 v112, v112                                   // 000000013AD8: 7EE04170
	v_exp_f32_e32 v113, v113                                   // 000000013ADC: 7EE24171
	v_exp_f32_e32 v114, v114                                   // 000000013AE0: 7EE44172
	v_exp_f32_e32 v115, v115                                   // 000000013AE4: 7EE64173
	v_exp_f32_e32 v116, v116                                   // 000000013AE8: 7EE84174
	v_exp_f32_e32 v117, v117                                   // 000000013AEC: 7EEA4175
	v_exp_f32_e32 v118, v118                                   // 000000013AF0: 7EEC4176
	v_exp_f32_e32 v119, v119                                   // 000000013AF4: 7EEE4177
	v_exp_f32_e32 v120, v120                                   // 000000013AF8: 7EF04178
	v_exp_f32_e32 v121, v121                                   // 000000013AFC: 7EF24179
	v_exp_f32_e32 v122, v122                                   // 000000013B00: 7EF4417A
	v_exp_f32_e32 v123, v123                                   // 000000013B04: 7EF6417B
	v_exp_f32_e32 v124, v124                                   // 000000013B08: 7EF8417C
	v_exp_f32_e32 v125, v125                                   // 000000013B0C: 7EFA417D
	v_exp_f32_e32 v126, v126                                   // 000000013B10: 7EFC417E
	v_exp_f32_e32 v127, v127                                   // 000000013B14: 7EFE417F
	buffer_load_dwordx4 a[72:75], v32, s[20:23], 0 offen       // 000000013B18: E05C1000 80854820
	v_mul_f32_dpp v240, v252, v112 quad_perm:[0,0,0,0] row_mask:0xf bank_mask:0xf// 000000013B20: 0BE0E0FA FF0000FC
	v_mul_f32_dpp v241, v252, v113 quad_perm:[1,1,1,1] row_mask:0xf bank_mask:0xf// 000000013B28: 0BE2E2FA FF0055FC
	v_mul_f32_dpp v242, v252, v114 quad_perm:[2,2,2,2] row_mask:0xf bank_mask:0xf// 000000013B30: 0BE4E4FA FF00AAFC
	v_mul_f32_dpp v243, v252, v115 quad_perm:[3,3,3,3] row_mask:0xf bank_mask:0xf// 000000013B38: 0BE6E6FA FF00FFFC
	v_mul_f32_dpp v244, v253, v116 quad_perm:[0,0,0,0] row_mask:0xf bank_mask:0xf// 000000013B40: 0BE8E8FA FF0000FD
	v_mul_f32_dpp v245, v253, v117 quad_perm:[1,1,1,1] row_mask:0xf bank_mask:0xf// 000000013B48: 0BEAEAFA FF0055FD
	v_mul_f32_dpp v246, v253, v118 quad_perm:[2,2,2,2] row_mask:0xf bank_mask:0xf// 000000013B50: 0BECECFA FF00AAFD
	v_mul_f32_dpp v247, v253, v119 quad_perm:[3,3,3,3] row_mask:0xf bank_mask:0xf// 000000013B58: 0BEEEEFA FF00FFFD
	v_mul_f32_dpp v248, v254, v120 quad_perm:[0,0,0,0] row_mask:0xf bank_mask:0xf// 000000013B60: 0BF0F0FA FF0000FE
	v_mul_f32_dpp v249, v254, v121 quad_perm:[1,1,1,1] row_mask:0xf bank_mask:0xf// 000000013B68: 0BF2F2FA FF0055FE
	v_mul_f32_dpp v250, v254, v122 quad_perm:[2,2,2,2] row_mask:0xf bank_mask:0xf// 000000013B70: 0BF4F4FA FF00AAFE
	v_mul_f32_dpp v251, v254, v123 quad_perm:[3,3,3,3] row_mask:0xf bank_mask:0xf// 000000013B78: 0BF6F6FA FF00FFFE
	v_mul_f32_dpp v252, v255, v124 quad_perm:[0,0,0,0] row_mask:0xf bank_mask:0xf// 000000013B80: 0BF8F8FA FF0000FF
	v_mul_f32_dpp v253, v255, v125 quad_perm:[1,1,1,1] row_mask:0xf bank_mask:0xf// 000000013B88: 0BFAFAFA FF0055FF
	v_mul_f32_dpp v254, v255, v126 quad_perm:[2,2,2,2] row_mask:0xf bank_mask:0xf// 000000013B90: 0BFCFCFA FF00AAFF
	v_mul_f32_dpp v255, v255, v127 quad_perm:[3,3,3,3] row_mask:0xf bank_mask:0xf// 000000013B98: 0BFEFEFA FF00FFFF
	v_mov_b32_e32 v48, 0x358637bd                              // 000000013BA0: 7E6002FF 358637BD
	v_max3_f32 v48, |v240|, |v241|, v48                        // 000000013BA8: D1D30330 04C3E3F0
	v_max3_f32 v48, |v242|, |v243|, v48                        // 000000013BB0: D1D30330 04C3E7F2
	v_max3_f32 v48, |v244|, |v245|, v48                        // 000000013BB8: D1D30330 04C3EBF4
	v_max3_f32 v48, |v246|, |v247|, v48                        // 000000013BC0: D1D30330 04C3EFF6
	v_max3_f32 v48, |v248|, |v249|, v48                        // 000000013BC8: D1D30330 04C3F3F8
	v_max3_f32 v48, |v250|, |v251|, v48                        // 000000013BD0: D1D30330 04C3F7FA
	v_max3_f32 v48, |v252|, |v253|, v48                        // 000000013BD8: D1D30330 04C3FBFC
	v_max3_f32 v48, |v254|, |v255|, v48                        // 000000013BE0: D1D30330 04C3FFFE
	buffer_load_dwordx4 a[76:79], v33, s[20:23], 0 offen       // 000000013BE8: E05C1000 80854C21
	ds_write_b32 v8, v48 offset:20992                          // 000000013BF0: D81A5200 00003008
	v_sub_f32_e32 v49, v11, v15                                // 000000013BF8: 04621F0B
	v_cndmask_b32_e64 v49, v49, 0, s[40:41]                    // 000000013BFC: D1000031 00A10131
	v_mov_b32_e32 v11, v15                                     // 000000013C04: 7E16030F
	v_mul_f32_e32 v49, s64, v49                                // 000000013C08: 0A626240
	v_exp_f32_e32 v49, v49                                     // 000000013C0C: 7E624131
	s_waitcnt lgkmcnt(0)                                       // 000000013C10: BF8CC07F
	s_barrier                                                  // 000000013C14: BF8A0000
	ds_read_b32 v64, v7 offset:20992                           // 000000013C18: D86C5200 40000007
	ds_read_b32 v65, v7 offset:21056                           // 000000013C20: D86C5240 41000007
	ds_read_b32 v66, v7 offset:21120                           // 000000013C28: D86C5280 42000007
	ds_read_b32 v67, v7 offset:21184                           // 000000013C30: D86C52C0 43000007
	ds_read_b32 v68, v7 offset:21248                           // 000000013C38: D86C5300 44000007
	ds_read_b32 v69, v7 offset:21312                           // 000000013C40: D86C5340 45000007
	ds_read_b32 v70, v7 offset:21376                           // 000000013C48: D86C5380 46000007
	ds_read_b32 v71, v7 offset:21440                           // 000000013C50: D86C53C0 47000007
	ds_read_b32 v72, v7 offset:21504                           // 000000013C58: D86C5400 48000007
	ds_read_b32 v73, v7 offset:21568                           // 000000013C60: D86C5440 49000007
	ds_read_b32 v74, v7 offset:21632                           // 000000013C68: D86C5480 4A000007
	ds_read_b32 v75, v7 offset:21696                           // 000000013C70: D86C54C0 4B000007
	ds_read_b32 v76, v7 offset:21760                           // 000000013C78: D86C5500 4C000007
	ds_read_b32 v77, v7 offset:21824                           // 000000013C80: D86C5540 4D000007
	ds_read_b32 v78, v7 offset:21888                           // 000000013C88: D86C5580 4E000007
	ds_read_b32 v79, v7 offset:21952                           // 000000013C90: D86C55C0 4F000007
	v_mul_f32_e32 v38, v49, v38                                // 000000013C98: 0A4C4D31
	v_mov_b32_e32 v15, v112                                    // 000000013C9C: 7E1E0370
	v_add_f32_e32 v15, v113, v15                               // 000000013CA0: 021E1F71
	v_add_f32_e32 v15, v114, v15                               // 000000013CA4: 021E1F72
	v_add_f32_e32 v15, v115, v15                               // 000000013CA8: 021E1F73
	v_add_f32_e32 v15, v116, v15                               // 000000013CAC: 021E1F74
	v_add_f32_e32 v15, v117, v15                               // 000000013CB0: 021E1F75
	v_add_f32_e32 v15, v118, v15                               // 000000013CB4: 021E1F76
	v_add_f32_e32 v15, v119, v15                               // 000000013CB8: 021E1F77
	v_add_f32_e32 v15, v120, v15                               // 000000013CBC: 021E1F78
	v_add_f32_e32 v15, v121, v15                               // 000000013CC0: 021E1F79
	v_add_f32_e32 v15, v122, v15                               // 000000013CC4: 021E1F7A
	v_add_f32_e32 v15, v123, v15                               // 000000013CC8: 021E1F7B
	v_add_f32_e32 v15, v124, v15                               // 000000013CCC: 021E1F7C
	v_add_f32_e32 v15, v125, v15                               // 000000013CD0: 021E1F7D
	v_add_f32_e32 v15, v126, v15                               // 000000013CD4: 021E1F7E
	v_add_f32_e32 v15, v127, v15                               // 000000013CD8: 021E1F7F
	v_add_f32_e32 v38, v15, v38                                // 000000013CDC: 024C4D0F
	s_waitcnt lgkmcnt(0)                                       // 000000013CE0: BF8CC07F
	v_max3_f32 v48, |v64|, |v65|, v48                          // 000000013CE4: D1D30330 04C28340
	v_max3_f32 v48, |v66|, |v67|, v48                          // 000000013CEC: D1D30330 04C28742
	v_max3_f32 v48, |v68|, |v69|, v48                          // 000000013CF4: D1D30330 04C28B44
	v_max3_f32 v48, |v70|, |v71|, v48                          // 000000013CFC: D1D30330 04C28F46
	v_max3_f32 v48, |v72|, |v73|, v48                          // 000000013D04: D1D30330 04C29348
	v_max3_f32 v48, |v74|, |v75|, v48                          // 000000013D0C: D1D30330 04C2974A
	v_max3_f32 v48, |v76|, |v77|, v48                          // 000000013D14: D1D30330 04C29B4C
	v_max3_f32 v48, |v78|, |v79|, v48                          // 000000013D1C: D1D30330 04C29F4E
	s_nop 2                                                    // 000000013D24: BF800002
	v_rcp_f32_e32 v48, v48                                     // 000000013D28: 7E604530
	s_nop 1                                                    // 000000013D2C: BF800001
	v_mul_f32_e32 v48, 0x43e00000, v48                         // 000000013D30: 0A6060FF 43E00000
	v_mul_f32_e32 v112, v48, v240                              // 000000013D38: 0AE1E130
	v_mul_f32_e32 v113, v48, v241                              // 000000013D3C: 0AE3E330
	v_mul_f32_e32 v114, v48, v242                              // 000000013D40: 0AE5E530
	v_mul_f32_e32 v115, v48, v243                              // 000000013D44: 0AE7E730
	v_mul_f32_e32 v116, v48, v244                              // 000000013D48: 0AE9E930
	v_mul_f32_e32 v117, v48, v245                              // 000000013D4C: 0AEBEB30
	v_mul_f32_e32 v118, v48, v246                              // 000000013D50: 0AEDED30
	v_mul_f32_e32 v119, v48, v247                              // 000000013D54: 0AEFEF30
	v_mul_f32_e32 v120, v48, v248                              // 000000013D58: 0AF1F130
	v_mul_f32_e32 v121, v48, v249                              // 000000013D5C: 0AF3F330
	v_mul_f32_e32 v122, v48, v250                              // 000000013D60: 0AF5F530
	v_mul_f32_e32 v123, v48, v251                              // 000000013D64: 0AF7F730
	v_mul_f32_e32 v124, v48, v252                              // 000000013D68: 0AF9F930
	v_mul_f32_e32 v125, v48, v253                              // 000000013D6C: 0AFBFB30
	v_mul_f32_e32 v126, v48, v254                              // 000000013D70: 0AFDFD30
	v_mul_f32_e32 v127, v48, v255                              // 000000013D74: 0AFFFF30
	v_cvt_pk_fp8_f32 v112, v112, v113                          // 000000013D78: D2A20070 0002E370
	v_cvt_pk_fp8_f32 v112, v114, v115 op_sel:[0,0,1]           // 000000013D80: D2A24070 0002E772
	v_cvt_pk_fp8_f32 v113, v116, v117                          // 000000013D88: D2A20071 0002EB74
	v_cvt_pk_fp8_f32 v113, v118, v119 op_sel:[0,0,1]           // 000000013D90: D2A24071 0002EF76
	v_cvt_pk_fp8_f32 v114, v120, v121                          // 000000013D98: D2A20072 0002F378
	v_cvt_pk_fp8_f32 v114, v122, v123 op_sel:[0,0,1]           // 000000013DA0: D2A24072 0002F77A
	v_cvt_pk_fp8_f32 v115, v124, v125                          // 000000013DA8: D2A20073 0002FB7C
	v_cvt_pk_fp8_f32 v115, v126, v127 op_sel:[0,0,1]           // 000000013DB0: D2A24073 0002FF7E
	ds_write_b32 v10, v112 offset:25088                        // 000000013DB8: D81A6200 0000700A
	ds_write_b32 v10, v113 offset:26112                        // 000000013DC0: D81A6600 0000710A
	ds_write_b32 v10, v114 offset:27136                        // 000000013DC8: D81A6A00 0000720A
	ds_write_b32 v10, v115 offset:28160                        // 000000013DD0: D81A6E00 0000730A
	v_add_f32_e32 v208, v208, v176                             // 000000013DD8: 03A161D0
	v_add_f32_e32 v209, v209, v177                             // 000000013DDC: 03A363D1
	v_add_f32_e32 v210, v210, v178                             // 000000013DE0: 03A565D2
	v_add_f32_e32 v211, v211, v179                             // 000000013DE4: 03A767D3
	v_add_f32_e32 v212, v212, v180                             // 000000013DE8: 03A969D4
	v_add_f32_e32 v213, v213, v181                             // 000000013DEC: 03AB6BD5
	v_add_f32_e32 v214, v214, v182                             // 000000013DF0: 03AD6DD6
	v_add_f32_e32 v215, v215, v183                             // 000000013DF4: 03AF6FD7
	v_rcp_f32_e32 v44, v48                                     // 000000013DF8: 7E584530
	s_waitcnt lgkmcnt(0)                                       // 000000013DFC: BF8CC07F
	s_barrier                                                  // 000000013E00: BF8A0000
	ds_read_b64 v[112:113], v9 offset:25088                    // 000000013E04: D8EC6200 70000009
	ds_read_b64 v[114:115], v9 offset:25216                    // 000000013E0C: D8EC6280 72000009
	ds_read_b64 v[116:117], v9 offset:26112                    // 000000013E14: D8EC6600 74000009
	ds_read_b64 v[118:119], v9 offset:26240                    // 000000013E1C: D8EC6680 76000009
	ds_read_b64 v[120:121], v9 offset:27136                    // 000000013E24: D8EC6A00 78000009
	ds_read_b64 v[122:123], v9 offset:27264                    // 000000013E2C: D8EC6A80 7A000009
	ds_read_b64 v[124:125], v9 offset:28160                    // 000000013E34: D8EC6E00 7C000009
	ds_read_b64 v[126:127], v9 offset:28288                    // 000000013E3C: D8EC6E80 7E000009
	v_mov_b32_dpp v64, v43 row_shr:4 row_mask:0xf bank_mask:0xf// 000000013E44: 7E8002FA FF01142B
	v_mov_b32_dpp v65, v43 row_shl:4 row_mask:0xf bank_mask:0xf// 000000013E4C: 7E8202FA FF01042B
	v_cndmask_b32_e64 v248, v43, v64, s[44:45]                 // 000000013E54: D10000F8 00B2812B
	v_cndmask_b32_e64 v249, v65, v43, s[44:45]                 // 000000013E5C: D10000F9 00B25741
	v_mov_b32_dpp v64, v248 row_shr:8 row_mask:0xf bank_mask:0xf// 000000013E64: 7E8002FA FF0118F8
	v_mov_b32_dpp v65, v248 row_shl:8 row_mask:0xf bank_mask:0xf// 000000013E6C: 7E8202FA FF0108F8
	v_mov_b32_dpp v66, v249 row_shr:8 row_mask:0xf bank_mask:0xf// 000000013E74: 7E8402FA FF0118F9
	v_mov_b32_dpp v67, v249 row_shl:8 row_mask:0xf bank_mask:0xf// 000000013E7C: 7E8602FA FF0108F9
	v_mov_b32_e32 v68, v248                                    // 000000013E84: 7E8803F8
	v_mov_b32_e32 v69, v249                                    // 000000013E88: 7E8A03F9
	v_cndmask_b32_e64 v248, v68, v64, s[42:43]                 // 000000013E8C: D10000F8 00AA8144
	v_cndmask_b32_e64 v250, v68, v65, s[78:79]                 // 000000013E94: D10000FA 013A8344
	v_cndmask_b32_e64 v249, v69, v66, s[42:43]                 // 000000013E9C: D10000F9 00AA8545
	v_cndmask_b32_e64 v251, v69, v67, s[78:79]                 // 000000013EA4: D10000FB 013A8745
	v_mov_b32_dpp v64, v58 row_shr:4 row_mask:0xf bank_mask:0xf// 000000013EAC: 7E8002FA FF01143A
	v_mov_b32_dpp v65, v58 row_shl:4 row_mask:0xf bank_mask:0xf// 000000013EB4: 7E8202FA FF01043A
	v_cndmask_b32_e64 v252, v58, v64, s[44:45]                 // 000000013EBC: D10000FC 00B2813A
	v_cndmask_b32_e64 v253, v65, v58, s[44:45]                 // 000000013EC4: D10000FD 00B27541
	v_mov_b32_dpp v64, v252 row_shr:8 row_mask:0xf bank_mask:0xf// 000000013ECC: 7E8002FA FF0118FC
	v_mov_b32_dpp v65, v252 row_shl:8 row_mask:0xf bank_mask:0xf// 000000013ED4: 7E8202FA FF0108FC
	v_mov_b32_dpp v66, v253 row_shr:8 row_mask:0xf bank_mask:0xf// 000000013EDC: 7E8402FA FF0118FD
	v_mov_b32_dpp v67, v253 row_shl:8 row_mask:0xf bank_mask:0xf// 000000013EE4: 7E8602FA FF0108FD
	v_mov_b32_e32 v68, v252                                    // 000000013EEC: 7E8803FC
	v_mov_b32_e32 v69, v253                                    // 000000013EF0: 7E8A03FD
	v_cndmask_b32_e64 v252, v68, v64, s[42:43]                 // 000000013EF4: D10000FC 00AA8144
	v_cndmask_b32_e64 v254, v68, v65, s[78:79]                 // 000000013EFC: D10000FE 013A8344
	v_cndmask_b32_e64 v253, v69, v66, s[42:43]                 // 000000013F04: D10000FD 00AA8545
	v_cndmask_b32_e64 v255, v69, v67, s[78:79]                 // 000000013F0C: D10000FF 013A8745
	v_mul_f32_e32 v128, v19, v128                              // 000000013F14: 0B010113
	v_mul_f32_e32 v129, v19, v129                              // 000000013F18: 0B030313
	v_mul_f32_e32 v130, v19, v130                              // 000000013F1C: 0B050513
	v_mul_f32_e32 v131, v19, v131                              // 000000013F20: 0B070713
	v_mul_f32_e32 v132, v19, v132                              // 000000013F24: 0B090913
	v_mul_f32_e32 v133, v19, v133                              // 000000013F28: 0B0B0B13
	v_mul_f32_e32 v134, v19, v134                              // 000000013F2C: 0B0D0D13
	v_mul_f32_e32 v135, v19, v135                              // 000000013F30: 0B0F0F13
	v_mul_f32_e32 v136, v19, v136                              // 000000013F34: 0B111113
	v_mul_f32_e32 v137, v19, v137                              // 000000013F38: 0B131313
	v_mul_f32_e32 v138, v19, v138                              // 000000013F3C: 0B151513
	v_mul_f32_e32 v139, v19, v139                              // 000000013F40: 0B171713
	v_mul_f32_e32 v140, v19, v140                              // 000000013F44: 0B191913
	v_mul_f32_e32 v141, v19, v141                              // 000000013F48: 0B1B1B13
	v_mul_f32_e32 v142, v19, v142                              // 000000013F4C: 0B1D1D13
	v_mul_f32_e32 v143, v19, v143                              // 000000013F50: 0B1F1F13
	v_mul_f32_dpp v128, v248, v128 quad_perm:[0,0,0,0] row_mask:0xf bank_mask:0xf// 000000013F54: 0B0100FA FF0000F8
	v_mul_f32_dpp v129, v248, v129 quad_perm:[1,1,1,1] row_mask:0xf bank_mask:0xf// 000000013F5C: 0B0302FA FF0055F8
	v_mul_f32_dpp v130, v248, v130 quad_perm:[2,2,2,2] row_mask:0xf bank_mask:0xf// 000000013F64: 0B0504FA FF00AAF8
	v_mul_f32_dpp v131, v248, v131 quad_perm:[3,3,3,3] row_mask:0xf bank_mask:0xf// 000000013F6C: 0B0706FA FF00FFF8
	v_mul_f32_dpp v132, v249, v132 quad_perm:[0,0,0,0] row_mask:0xf bank_mask:0xf// 000000013F74: 0B0908FA FF0000F9
	v_mul_f32_dpp v133, v249, v133 quad_perm:[1,1,1,1] row_mask:0xf bank_mask:0xf// 000000013F7C: 0B0B0AFA FF0055F9
	v_mul_f32_dpp v134, v249, v134 quad_perm:[2,2,2,2] row_mask:0xf bank_mask:0xf// 000000013F84: 0B0D0CFA FF00AAF9
	v_mul_f32_dpp v135, v249, v135 quad_perm:[3,3,3,3] row_mask:0xf bank_mask:0xf// 000000013F8C: 0B0F0EFA FF00FFF9
	v_mul_f32_dpp v136, v250, v136 quad_perm:[0,0,0,0] row_mask:0xf bank_mask:0xf// 000000013F94: 0B1110FA FF0000FA
	v_mul_f32_dpp v137, v250, v137 quad_perm:[1,1,1,1] row_mask:0xf bank_mask:0xf// 000000013F9C: 0B1312FA FF0055FA
	v_mul_f32_dpp v138, v250, v138 quad_perm:[2,2,2,2] row_mask:0xf bank_mask:0xf// 000000013FA4: 0B1514FA FF00AAFA
	v_mul_f32_dpp v139, v250, v139 quad_perm:[3,3,3,3] row_mask:0xf bank_mask:0xf// 000000013FAC: 0B1716FA FF00FFFA
	v_mul_f32_dpp v140, v251, v140 quad_perm:[0,0,0,0] row_mask:0xf bank_mask:0xf// 000000013FB4: 0B1918FA FF0000FB
	v_mul_f32_dpp v141, v251, v141 quad_perm:[1,1,1,1] row_mask:0xf bank_mask:0xf// 000000013FBC: 0B1B1AFA FF0055FB
	v_mul_f32_dpp v142, v251, v142 quad_perm:[2,2,2,2] row_mask:0xf bank_mask:0xf// 000000013FC4: 0B1D1CFA FF00AAFB
	v_mul_f32_dpp v143, v251, v143 quad_perm:[3,3,3,3] row_mask:0xf bank_mask:0xf// 000000013FCC: 0B1F1EFA FF00FFFB
	v_mov_b32_e32 v48, v128                                    // 000000013FD4: 7E600380
	v_max3_f32 v48, v128, v129, v48                            // 000000013FD8: D1D30030 04C30380
	v_max3_f32 v48, v130, v131, v48                            // 000000013FE0: D1D30030 04C30782
	v_max3_f32 v48, v132, v133, v48                            // 000000013FE8: D1D30030 04C30B84
	v_max3_f32 v48, v134, v135, v48                            // 000000013FF0: D1D30030 04C30F86
	v_max3_f32 v48, v136, v137, v48                            // 000000013FF8: D1D30030 04C31388
	v_max3_f32 v48, v138, v139, v48                            // 000000014000: D1D30030 04C3178A
	v_max3_f32 v48, v140, v141, v48                            // 000000014008: D1D30030 04C31B8C
	v_max3_f32 v48, v142, v143, v48                            // 000000014010: D1D30030 04C31F8E
	ds_write_b32 v8, v48 offset:16896                          // 000000014018: D81A4200 00003008
	v_mul_f32_e32 v216, v50, v216                              // 000000014020: 0BB1B132
	v_mul_f32_e32 v217, v50, v217                              // 000000014024: 0BB3B332
	v_mul_f32_e32 v218, v50, v218                              // 000000014028: 0BB5B532
	v_mul_f32_e32 v219, v50, v219                              // 00000001402C: 0BB7B732
	v_mul_f32_e32 v220, v50, v220                              // 000000014030: 0BB9B932
	v_mul_f32_e32 v221, v50, v221                              // 000000014034: 0BBBBB32
	v_mul_f32_e32 v222, v50, v222                              // 000000014038: 0BBDBD32
	v_mul_f32_e32 v223, v50, v223                              // 00000001403C: 0BBFBF32
	s_waitcnt lgkmcnt(0)                                       // 000000014040: BF8CC07F
	s_barrier                                                  // 000000014044: BF8A0000
	ds_read_b32 v64, v7 offset:16896                           // 000000014048: D86C4200 40000007
	ds_read_b32 v65, v7 offset:16960                           // 000000014050: D86C4240 41000007
	ds_read_b32 v66, v7 offset:17024                           // 000000014058: D86C4280 42000007
	ds_read_b32 v67, v7 offset:17088                           // 000000014060: D86C42C0 43000007
	ds_read_b32 v68, v7 offset:17152                           // 000000014068: D86C4300 44000007
	ds_read_b32 v69, v7 offset:17216                           // 000000014070: D86C4340 45000007
	ds_read_b32 v70, v7 offset:17280                           // 000000014078: D86C4380 46000007
	ds_read_b32 v71, v7 offset:17344                           // 000000014080: D86C43C0 47000007
	ds_read_b32 v72, v7 offset:17408                           // 000000014088: D86C4400 48000007
	ds_read_b32 v73, v7 offset:17472                           // 000000014090: D86C4440 49000007
	ds_read_b32 v74, v7 offset:17536                           // 000000014098: D86C4480 4A000007
	ds_read_b32 v75, v7 offset:17600                           // 0000000140A0: D86C44C0 4B000007
	ds_read_b32 v76, v7 offset:17664                           // 0000000140A8: D86C4500 4C000007
	ds_read_b32 v77, v7 offset:17728                           // 0000000140B0: D86C4540 4D000007
	ds_read_b32 v78, v7 offset:17792                           // 0000000140B8: D86C4580 4E000007
	ds_read_b32 v79, v7 offset:17856                           // 0000000140C0: D86C45C0 4F000007
	v_mul_f32_e32 v184, v45, v184                              // 0000000140C8: 0B71712D
	v_mul_f32_e32 v185, v45, v185                              // 0000000140CC: 0B73732D
	v_mul_f32_e32 v186, v45, v186                              // 0000000140D0: 0B75752D
	v_mul_f32_e32 v187, v45, v187                              // 0000000140D4: 0B77772D
	v_mul_f32_e32 v188, v45, v188                              // 0000000140D8: 0B79792D
	v_mul_f32_e32 v189, v45, v189                              // 0000000140DC: 0B7B7B2D
	v_mul_f32_e32 v190, v45, v190                              // 0000000140E0: 0B7D7D2D
	v_mul_f32_e32 v191, v45, v191                              // 0000000140E4: 0B7F7F2D
	s_waitcnt lgkmcnt(0)                                       // 0000000140E8: BF8CC07F
	v_max3_f32 v48, v64, v65, v48                              // 0000000140EC: D1D30030 04C28340
	v_max3_f32 v48, v66, v67, v48                              // 0000000140F4: D1D30030 04C28742
	v_max3_f32 v48, v68, v69, v48                              // 0000000140FC: D1D30030 04C28B44
	v_max3_f32 v48, v70, v71, v48                              // 000000014104: D1D30030 04C28F46
	v_max3_f32 v48, v72, v73, v48                              // 00000001410C: D1D30030 04C29348
	v_max3_f32 v48, v74, v75, v48                              // 000000014114: D1D30030 04C2974A
	v_max3_f32 v48, v76, v77, v48                              // 00000001411C: D1D30030 04C29B4C
	v_max3_f32 v48, v78, v79, v48                              // 000000014124: D1D30030 04C29F4E
	v_mov_b32_e32 v64, 0xff800000                              // 00000001412C: 7E8002FF FF800000
	v_cmp_eq_u32_e64 s[40:41], v64, v12                        // 000000014134: D0CA0028 00021940
	s_nop 1                                                    // 00000001413C: BF800001
	v_max_f32_e32 v15, v48, v12                                // 000000014140: 161E1930
	v_mul_f32_e32 v53, s64, v15                                // 000000014144: 0A6A1E40
	v_fma_f32 v128, v128, s64, -v53                            // 000000014148: D1CB0080 84D48180
	v_fma_f32 v129, v129, s64, -v53                            // 000000014150: D1CB0081 84D48181
	v_fma_f32 v130, v130, s64, -v53                            // 000000014158: D1CB0082 84D48182
	v_fma_f32 v131, v131, s64, -v53                            // 000000014160: D1CB0083 84D48183
	v_fma_f32 v132, v132, s64, -v53                            // 000000014168: D1CB0084 84D48184
	v_fma_f32 v133, v133, s64, -v53                            // 000000014170: D1CB0085 84D48185
	v_fma_f32 v134, v134, s64, -v53                            // 000000014178: D1CB0086 84D48186
	v_fma_f32 v135, v135, s64, -v53                            // 000000014180: D1CB0087 84D48187
	v_fma_f32 v136, v136, s64, -v53                            // 000000014188: D1CB0088 84D48188
	v_fma_f32 v137, v137, s64, -v53                            // 000000014190: D1CB0089 84D48189
	v_fma_f32 v138, v138, s64, -v53                            // 000000014198: D1CB008A 84D4818A
	v_fma_f32 v139, v139, s64, -v53                            // 0000000141A0: D1CB008B 84D4818B
	v_fma_f32 v140, v140, s64, -v53                            // 0000000141A8: D1CB008C 84D4818C
	v_fma_f32 v141, v141, s64, -v53                            // 0000000141B0: D1CB008D 84D4818D
	v_fma_f32 v142, v142, s64, -v53                            // 0000000141B8: D1CB008E 84D4818E
	v_fma_f32 v143, v143, s64, -v53                            // 0000000141C0: D1CB008F 84D4818F
	v_exp_f32_e32 v128, v128                                   // 0000000141C8: 7F004180
	v_exp_f32_e32 v129, v129                                   // 0000000141CC: 7F024181
	v_exp_f32_e32 v130, v130                                   // 0000000141D0: 7F044182
	v_exp_f32_e32 v131, v131                                   // 0000000141D4: 7F064183
	v_exp_f32_e32 v132, v132                                   // 0000000141D8: 7F084184
	v_exp_f32_e32 v133, v133                                   // 0000000141DC: 7F0A4185
	v_exp_f32_e32 v134, v134                                   // 0000000141E0: 7F0C4186
	v_exp_f32_e32 v135, v135                                   // 0000000141E4: 7F0E4187
	v_exp_f32_e32 v136, v136                                   // 0000000141E8: 7F104188
	v_exp_f32_e32 v137, v137                                   // 0000000141EC: 7F124189
	v_exp_f32_e32 v138, v138                                   // 0000000141F0: 7F14418A
	v_exp_f32_e32 v139, v139                                   // 0000000141F4: 7F16418B
	v_exp_f32_e32 v140, v140                                   // 0000000141F8: 7F18418C
	v_exp_f32_e32 v141, v141                                   // 0000000141FC: 7F1A418D
	v_exp_f32_e32 v142, v142                                   // 000000014200: 7F1C418E
	v_exp_f32_e32 v143, v143                                   // 000000014204: 7F1E418F
	v_mul_f32_dpp v240, v252, v128 quad_perm:[0,0,0,0] row_mask:0xf bank_mask:0xf// 000000014208: 0BE100FA FF0000FC
	v_mul_f32_dpp v241, v252, v129 quad_perm:[1,1,1,1] row_mask:0xf bank_mask:0xf// 000000014210: 0BE302FA FF0055FC
	v_mul_f32_dpp v242, v252, v130 quad_perm:[2,2,2,2] row_mask:0xf bank_mask:0xf// 000000014218: 0BE504FA FF00AAFC
	v_mul_f32_dpp v243, v252, v131 quad_perm:[3,3,3,3] row_mask:0xf bank_mask:0xf// 000000014220: 0BE706FA FF00FFFC
	v_mul_f32_dpp v244, v253, v132 quad_perm:[0,0,0,0] row_mask:0xf bank_mask:0xf// 000000014228: 0BE908FA FF0000FD
	v_mul_f32_dpp v245, v253, v133 quad_perm:[1,1,1,1] row_mask:0xf bank_mask:0xf// 000000014230: 0BEB0AFA FF0055FD
	v_mul_f32_dpp v246, v253, v134 quad_perm:[2,2,2,2] row_mask:0xf bank_mask:0xf// 000000014238: 0BED0CFA FF00AAFD
	v_mul_f32_dpp v247, v253, v135 quad_perm:[3,3,3,3] row_mask:0xf bank_mask:0xf// 000000014240: 0BEF0EFA FF00FFFD
	v_mul_f32_dpp v248, v254, v136 quad_perm:[0,0,0,0] row_mask:0xf bank_mask:0xf// 000000014248: 0BF110FA FF0000FE
	v_mul_f32_dpp v249, v254, v137 quad_perm:[1,1,1,1] row_mask:0xf bank_mask:0xf// 000000014250: 0BF312FA FF0055FE
	v_mul_f32_dpp v250, v254, v138 quad_perm:[2,2,2,2] row_mask:0xf bank_mask:0xf// 000000014258: 0BF514FA FF00AAFE
	v_mul_f32_dpp v251, v254, v139 quad_perm:[3,3,3,3] row_mask:0xf bank_mask:0xf// 000000014260: 0BF716FA FF00FFFE
	v_mul_f32_dpp v252, v255, v140 quad_perm:[0,0,0,0] row_mask:0xf bank_mask:0xf// 000000014268: 0BF918FA FF0000FF
	v_mul_f32_dpp v253, v255, v141 quad_perm:[1,1,1,1] row_mask:0xf bank_mask:0xf// 000000014270: 0BFB1AFA FF0055FF
	v_mul_f32_dpp v254, v255, v142 quad_perm:[2,2,2,2] row_mask:0xf bank_mask:0xf// 000000014278: 0BFD1CFA FF00AAFF
	v_mul_f32_dpp v255, v255, v143 quad_perm:[3,3,3,3] row_mask:0xf bank_mask:0xf// 000000014280: 0BFF1EFA FF00FFFF
	v_mov_b32_e32 v48, 0x358637bd                              // 000000014288: 7E6002FF 358637BD
	v_max3_f32 v48, |v240|, |v241|, v48                        // 000000014290: D1D30330 04C3E3F0
	v_max3_f32 v48, |v242|, |v243|, v48                        // 000000014298: D1D30330 04C3E7F2
	v_max3_f32 v48, |v244|, |v245|, v48                        // 0000000142A0: D1D30330 04C3EBF4
	v_max3_f32 v48, |v246|, |v247|, v48                        // 0000000142A8: D1D30330 04C3EFF6
	v_max3_f32 v48, |v248|, |v249|, v48                        // 0000000142B0: D1D30330 04C3F3F8
	v_max3_f32 v48, |v250|, |v251|, v48                        // 0000000142B8: D1D30330 04C3F7FA
	v_max3_f32 v48, |v252|, |v253|, v48                        // 0000000142C0: D1D30330 04C3FBFC
	v_max3_f32 v48, |v254|, |v255|, v48                        // 0000000142C8: D1D30330 04C3FFFE
	ds_write_b32 v8, v48 offset:20992                          // 0000000142D0: D81A5200 00003008
	v_sub_f32_e32 v50, v12, v15                                // 0000000142D8: 04641F0C
	v_cndmask_b32_e64 v50, v50, 0, s[40:41]                    // 0000000142DC: D1000032 00A10132
	v_mov_b32_e32 v12, v15                                     // 0000000142E4: 7E18030F
	v_mul_f32_e32 v50, s64, v50                                // 0000000142E8: 0A646440
	v_exp_f32_e32 v50, v50                                     // 0000000142EC: 7E644132
	s_waitcnt lgkmcnt(0)                                       // 0000000142F0: BF8CC07F
	s_barrier                                                  // 0000000142F4: BF8A0000
	ds_read_b32 v64, v7 offset:20992                           // 0000000142F8: D86C5200 40000007
	ds_read_b32 v65, v7 offset:21056                           // 000000014300: D86C5240 41000007
	ds_read_b32 v66, v7 offset:21120                           // 000000014308: D86C5280 42000007
	ds_read_b32 v67, v7 offset:21184                           // 000000014310: D86C52C0 43000007
	ds_read_b32 v68, v7 offset:21248                           // 000000014318: D86C5300 44000007
	ds_read_b32 v69, v7 offset:21312                           // 000000014320: D86C5340 45000007
	ds_read_b32 v70, v7 offset:21376                           // 000000014328: D86C5380 46000007
	ds_read_b32 v71, v7 offset:21440                           // 000000014330: D86C53C0 47000007
	ds_read_b32 v72, v7 offset:21504                           // 000000014338: D86C5400 48000007
	ds_read_b32 v73, v7 offset:21568                           // 000000014340: D86C5440 49000007
	ds_read_b32 v74, v7 offset:21632                           // 000000014348: D86C5480 4A000007
	ds_read_b32 v75, v7 offset:21696                           // 000000014350: D86C54C0 4B000007
	ds_read_b32 v76, v7 offset:21760                           // 000000014358: D86C5500 4C000007
	ds_read_b32 v77, v7 offset:21824                           // 000000014360: D86C5540 4D000007
	ds_read_b32 v78, v7 offset:21888                           // 000000014368: D86C5580 4E000007
	ds_read_b32 v79, v7 offset:21952                           // 000000014370: D86C55C0 4F000007
	v_mul_f32_e32 v39, v50, v39                                // 000000014378: 0A4E4F32
	v_mov_b32_e32 v15, v128                                    // 00000001437C: 7E1E0380
	v_add_f32_e32 v15, v129, v15                               // 000000014380: 021E1F81
	v_add_f32_e32 v15, v130, v15                               // 000000014384: 021E1F82
	v_add_f32_e32 v15, v131, v15                               // 000000014388: 021E1F83
	v_add_f32_e32 v15, v132, v15                               // 00000001438C: 021E1F84
	v_add_f32_e32 v15, v133, v15                               // 000000014390: 021E1F85
	v_add_f32_e32 v15, v134, v15                               // 000000014394: 021E1F86
	v_add_f32_e32 v15, v135, v15                               // 000000014398: 021E1F87
	v_add_f32_e32 v15, v136, v15                               // 00000001439C: 021E1F88
	v_add_f32_e32 v15, v137, v15                               // 0000000143A0: 021E1F89
	v_add_f32_e32 v15, v138, v15                               // 0000000143A4: 021E1F8A
	v_add_f32_e32 v15, v139, v15                               // 0000000143A8: 021E1F8B
	v_add_f32_e32 v15, v140, v15                               // 0000000143AC: 021E1F8C
	v_add_f32_e32 v15, v141, v15                               // 0000000143B0: 021E1F8D
	v_add_f32_e32 v15, v142, v15                               // 0000000143B4: 021E1F8E
	v_add_f32_e32 v15, v143, v15                               // 0000000143B8: 021E1F8F
	v_add_f32_e32 v39, v15, v39                                // 0000000143BC: 024E4F0F
	s_waitcnt lgkmcnt(0)                                       // 0000000143C0: BF8CC07F
	v_max3_f32 v48, |v64|, |v65|, v48                          // 0000000143C4: D1D30330 04C28340
	v_max3_f32 v48, |v66|, |v67|, v48                          // 0000000143CC: D1D30330 04C28742
	v_max3_f32 v48, |v68|, |v69|, v48                          // 0000000143D4: D1D30330 04C28B44
	v_max3_f32 v48, |v70|, |v71|, v48                          // 0000000143DC: D1D30330 04C28F46
	v_max3_f32 v48, |v72|, |v73|, v48                          // 0000000143E4: D1D30330 04C29348
	v_max3_f32 v48, |v74|, |v75|, v48                          // 0000000143EC: D1D30330 04C2974A
	v_max3_f32 v48, |v76|, |v77|, v48                          // 0000000143F4: D1D30330 04C29B4C
	v_max3_f32 v48, |v78|, |v79|, v48                          // 0000000143FC: D1D30330 04C29F4E
	s_nop 2                                                    // 000000014404: BF800002
	v_rcp_f32_e32 v48, v48                                     // 000000014408: 7E604530
	s_nop 1                                                    // 00000001440C: BF800001
	v_mul_f32_e32 v48, 0x43e00000, v48                         // 000000014410: 0A6060FF 43E00000
	v_mul_f32_e32 v128, v48, v240                              // 000000014418: 0B01E130
	v_mul_f32_e32 v129, v48, v241                              // 00000001441C: 0B03E330
	v_mul_f32_e32 v130, v48, v242                              // 000000014420: 0B05E530
	v_mul_f32_e32 v131, v48, v243                              // 000000014424: 0B07E730
	v_mul_f32_e32 v132, v48, v244                              // 000000014428: 0B09E930
	v_mul_f32_e32 v133, v48, v245                              // 00000001442C: 0B0BEB30
	v_mul_f32_e32 v134, v48, v246                              // 000000014430: 0B0DED30
	v_mul_f32_e32 v135, v48, v247                              // 000000014434: 0B0FEF30
	v_mul_f32_e32 v136, v48, v248                              // 000000014438: 0B11F130
	v_mul_f32_e32 v137, v48, v249                              // 00000001443C: 0B13F330
	v_mul_f32_e32 v138, v48, v250                              // 000000014440: 0B15F530
	v_mul_f32_e32 v139, v48, v251                              // 000000014444: 0B17F730
	v_mul_f32_e32 v140, v48, v252                              // 000000014448: 0B19F930
	v_mul_f32_e32 v141, v48, v253                              // 00000001444C: 0B1BFB30
	v_mul_f32_e32 v142, v48, v254                              // 000000014450: 0B1DFD30
	v_mul_f32_e32 v143, v48, v255                              // 000000014454: 0B1FFF30
	v_cvt_pk_fp8_f32 v128, v128, v129                          // 000000014458: D2A20080 00030380
	v_cvt_pk_fp8_f32 v128, v130, v131 op_sel:[0,0,1]           // 000000014460: D2A24080 00030782
	v_cvt_pk_fp8_f32 v129, v132, v133                          // 000000014468: D2A20081 00030B84
	v_cvt_pk_fp8_f32 v129, v134, v135 op_sel:[0,0,1]           // 000000014470: D2A24081 00030F86
	v_cvt_pk_fp8_f32 v130, v136, v137                          // 000000014478: D2A20082 00031388
	v_cvt_pk_fp8_f32 v130, v138, v139 op_sel:[0,0,1]           // 000000014480: D2A24082 0003178A
	v_cvt_pk_fp8_f32 v131, v140, v141                          // 000000014488: D2A20083 00031B8C
	v_cvt_pk_fp8_f32 v131, v142, v143 op_sel:[0,0,1]           // 000000014490: D2A24083 00031F8E
	ds_write_b32 v10, v128 offset:29184                        // 000000014498: D81A7200 0000800A
	ds_write_b32 v10, v129 offset:30208                        // 0000000144A0: D81A7600 0000810A
	ds_write_b32 v10, v130 offset:31232                        // 0000000144A8: D81A7A00 0000820A
	ds_write_b32 v10, v131 offset:32256                        // 0000000144B0: D81A7E00 0000830A
	v_add_f32_e32 v216, v216, v184                             // 0000000144B8: 03B171D8
	v_add_f32_e32 v217, v217, v185                             // 0000000144BC: 03B373D9
	v_add_f32_e32 v218, v218, v186                             // 0000000144C0: 03B575DA
	v_add_f32_e32 v219, v219, v187                             // 0000000144C4: 03B777DB
	v_add_f32_e32 v220, v220, v188                             // 0000000144C8: 03B979DC
	v_add_f32_e32 v221, v221, v189                             // 0000000144CC: 03BB7BDD
	v_add_f32_e32 v222, v222, v190                             // 0000000144D0: 03BD7DDE
	v_add_f32_e32 v223, v223, v191                             // 0000000144D4: 03BF7FDF
	v_rcp_f32_e32 v45, v48                                     // 0000000144D8: 7E5A4530
	s_waitcnt lgkmcnt(0)                                       // 0000000144DC: BF8CC07F
	s_barrier                                                  // 0000000144E0: BF8A0000
	ds_read_b64 v[128:129], v9 offset:29184                    // 0000000144E4: D8EC7200 80000009
	ds_read_b64 v[130:131], v9 offset:29312                    // 0000000144EC: D8EC7280 82000009
	ds_read_b64 v[132:133], v9 offset:30208                    // 0000000144F4: D8EC7600 84000009
	ds_read_b64 v[134:135], v9 offset:30336                    // 0000000144FC: D8EC7680 86000009
	ds_read_b64 v[136:137], v9 offset:31232                    // 000000014504: D8EC7A00 88000009
	ds_read_b64 v[138:139], v9 offset:31360                    // 00000001450C: D8EC7A80 8A000009
	ds_read_b64 v[140:141], v9 offset:32256                    // 000000014514: D8EC7E00 8C000009
	ds_read_b64 v[142:143], v9 offset:32384                    // 00000001451C: D8EC7E80 8E000009
	v_mov_b32_dpp v64, v43 row_shr:4 row_mask:0xf bank_mask:0xf// 000000014524: 7E8002FA FF01142B
	v_mov_b32_dpp v65, v43 row_shl:4 row_mask:0xf bank_mask:0xf// 00000001452C: 7E8202FA FF01042B
	v_cndmask_b32_e64 v248, v43, v64, s[44:45]                 // 000000014534: D10000F8 00B2812B
	v_cndmask_b32_e64 v249, v65, v43, s[44:45]                 // 00000001453C: D10000F9 00B25741
	v_mov_b32_dpp v64, v248 row_shr:8 row_mask:0xf bank_mask:0xf// 000000014544: 7E8002FA FF0118F8
	v_mov_b32_dpp v65, v248 row_shl:8 row_mask:0xf bank_mask:0xf// 00000001454C: 7E8202FA FF0108F8
	v_mov_b32_dpp v66, v249 row_shr:8 row_mask:0xf bank_mask:0xf// 000000014554: 7E8402FA FF0118F9
	v_mov_b32_dpp v67, v249 row_shl:8 row_mask:0xf bank_mask:0xf// 00000001455C: 7E8602FA FF0108F9
	v_mov_b32_e32 v68, v248                                    // 000000014564: 7E8803F8
	v_mov_b32_e32 v69, v249                                    // 000000014568: 7E8A03F9
	v_cndmask_b32_e64 v248, v68, v64, s[42:43]                 // 00000001456C: D10000F8 00AA8144
	v_cndmask_b32_e64 v250, v68, v65, s[78:79]                 // 000000014574: D10000FA 013A8344
	v_cndmask_b32_e64 v249, v69, v66, s[42:43]                 // 00000001457C: D10000F9 00AA8545
	v_cndmask_b32_e64 v251, v69, v67, s[78:79]                 // 000000014584: D10000FB 013A8745
	v_mov_b32_dpp v64, v58 row_shr:4 row_mask:0xf bank_mask:0xf// 00000001458C: 7E8002FA FF01143A
	v_mov_b32_dpp v65, v58 row_shl:4 row_mask:0xf bank_mask:0xf// 000000014594: 7E8202FA FF01043A
	v_cndmask_b32_e64 v252, v58, v64, s[44:45]                 // 00000001459C: D10000FC 00B2813A
	v_cndmask_b32_e64 v253, v65, v58, s[44:45]                 // 0000000145A4: D10000FD 00B27541
	v_mov_b32_dpp v64, v252 row_shr:8 row_mask:0xf bank_mask:0xf// 0000000145AC: 7E8002FA FF0118FC
	v_mov_b32_dpp v65, v252 row_shl:8 row_mask:0xf bank_mask:0xf// 0000000145B4: 7E8202FA FF0108FC
	v_mov_b32_dpp v66, v253 row_shr:8 row_mask:0xf bank_mask:0xf// 0000000145BC: 7E8402FA FF0118FD
	v_mov_b32_dpp v67, v253 row_shl:8 row_mask:0xf bank_mask:0xf// 0000000145C4: 7E8602FA FF0108FD
	v_mov_b32_e32 v68, v252                                    // 0000000145CC: 7E8803FC
	v_mov_b32_e32 v69, v253                                    // 0000000145D0: 7E8A03FD
	v_cndmask_b32_e64 v252, v68, v64, s[42:43]                 // 0000000145D4: D10000FC 00AA8144
	v_cndmask_b32_e64 v254, v68, v65, s[78:79]                 // 0000000145DC: D10000FE 013A8344
	v_cndmask_b32_e64 v253, v69, v66, s[42:43]                 // 0000000145E4: D10000FD 00AA8545
	v_cndmask_b32_e64 v255, v69, v67, s[78:79]                 // 0000000145EC: D10000FF 013A8745
	v_mul_f32_e32 v144, v20, v144                              // 0000000145F4: 0B212114
	v_mul_f32_e32 v145, v20, v145                              // 0000000145F8: 0B232314
	v_mul_f32_e32 v146, v20, v146                              // 0000000145FC: 0B252514
	v_mul_f32_e32 v147, v20, v147                              // 000000014600: 0B272714
	v_mul_f32_e32 v148, v20, v148                              // 000000014604: 0B292914
	v_mul_f32_e32 v149, v20, v149                              // 000000014608: 0B2B2B14
	v_mul_f32_e32 v150, v20, v150                              // 00000001460C: 0B2D2D14
	v_mul_f32_e32 v151, v20, v151                              // 000000014610: 0B2F2F14
	v_mul_f32_e32 v152, v20, v152                              // 000000014614: 0B313114
	v_mul_f32_e32 v153, v20, v153                              // 000000014618: 0B333314
	v_mul_f32_e32 v154, v20, v154                              // 00000001461C: 0B353514
	v_mul_f32_e32 v155, v20, v155                              // 000000014620: 0B373714
	v_mul_f32_e32 v156, v20, v156                              // 000000014624: 0B393914
	v_mul_f32_e32 v157, v20, v157                              // 000000014628: 0B3B3B14
	v_mul_f32_e32 v158, v20, v158                              // 00000001462C: 0B3D3D14
	v_mul_f32_e32 v159, v20, v159                              // 000000014630: 0B3F3F14
	v_mul_f32_dpp v144, v248, v144 quad_perm:[0,0,0,0] row_mask:0xf bank_mask:0xf// 000000014634: 0B2120FA FF0000F8
	v_mul_f32_dpp v145, v248, v145 quad_perm:[1,1,1,1] row_mask:0xf bank_mask:0xf// 00000001463C: 0B2322FA FF0055F8
	v_mul_f32_dpp v146, v248, v146 quad_perm:[2,2,2,2] row_mask:0xf bank_mask:0xf// 000000014644: 0B2524FA FF00AAF8
	v_mul_f32_dpp v147, v248, v147 quad_perm:[3,3,3,3] row_mask:0xf bank_mask:0xf// 00000001464C: 0B2726FA FF00FFF8
	v_mul_f32_dpp v148, v249, v148 quad_perm:[0,0,0,0] row_mask:0xf bank_mask:0xf// 000000014654: 0B2928FA FF0000F9
	v_mul_f32_dpp v149, v249, v149 quad_perm:[1,1,1,1] row_mask:0xf bank_mask:0xf// 00000001465C: 0B2B2AFA FF0055F9
	v_mul_f32_dpp v150, v249, v150 quad_perm:[2,2,2,2] row_mask:0xf bank_mask:0xf// 000000014664: 0B2D2CFA FF00AAF9
	v_mul_f32_dpp v151, v249, v151 quad_perm:[3,3,3,3] row_mask:0xf bank_mask:0xf// 00000001466C: 0B2F2EFA FF00FFF9
	v_mul_f32_dpp v152, v250, v152 quad_perm:[0,0,0,0] row_mask:0xf bank_mask:0xf// 000000014674: 0B3130FA FF0000FA
	v_mul_f32_dpp v153, v250, v153 quad_perm:[1,1,1,1] row_mask:0xf bank_mask:0xf// 00000001467C: 0B3332FA FF0055FA
	v_mul_f32_dpp v154, v250, v154 quad_perm:[2,2,2,2] row_mask:0xf bank_mask:0xf// 000000014684: 0B3534FA FF00AAFA
	v_mul_f32_dpp v155, v250, v155 quad_perm:[3,3,3,3] row_mask:0xf bank_mask:0xf// 00000001468C: 0B3736FA FF00FFFA
	v_mul_f32_dpp v156, v251, v156 quad_perm:[0,0,0,0] row_mask:0xf bank_mask:0xf// 000000014694: 0B3938FA FF0000FB
	v_mul_f32_dpp v157, v251, v157 quad_perm:[1,1,1,1] row_mask:0xf bank_mask:0xf// 00000001469C: 0B3B3AFA FF0055FB
	v_mul_f32_dpp v158, v251, v158 quad_perm:[2,2,2,2] row_mask:0xf bank_mask:0xf// 0000000146A4: 0B3D3CFA FF00AAFB
	v_mul_f32_dpp v159, v251, v159 quad_perm:[3,3,3,3] row_mask:0xf bank_mask:0xf// 0000000146AC: 0B3F3EFA FF00FFFB
	v_mov_b32_e32 v48, v144                                    // 0000000146B4: 7E600390
	v_max3_f32 v48, v144, v145, v48                            // 0000000146B8: D1D30030 04C32390
	v_max3_f32 v48, v146, v147, v48                            // 0000000146C0: D1D30030 04C32792
	v_max3_f32 v48, v148, v149, v48                            // 0000000146C8: D1D30030 04C32B94
	v_max3_f32 v48, v150, v151, v48                            // 0000000146D0: D1D30030 04C32F96
	v_max3_f32 v48, v152, v153, v48                            // 0000000146D8: D1D30030 04C33398
	v_max3_f32 v48, v154, v155, v48                            // 0000000146E0: D1D30030 04C3379A
	v_max3_f32 v48, v156, v157, v48                            // 0000000146E8: D1D30030 04C33B9C
	v_max3_f32 v48, v158, v159, v48                            // 0000000146F0: D1D30030 04C33F9E
	ds_write_b32 v8, v48 offset:16896                          // 0000000146F8: D81A4200 00003008
	v_mul_f32_e32 v224, v51, v224                              // 000000014700: 0BC1C133
	v_mul_f32_e32 v225, v51, v225                              // 000000014704: 0BC3C333
	v_mul_f32_e32 v226, v51, v226                              // 000000014708: 0BC5C533
	v_mul_f32_e32 v227, v51, v227                              // 00000001470C: 0BC7C733
	v_mul_f32_e32 v228, v51, v228                              // 000000014710: 0BC9C933
	v_mul_f32_e32 v229, v51, v229                              // 000000014714: 0BCBCB33
	v_mul_f32_e32 v230, v51, v230                              // 000000014718: 0BCDCD33
	v_mul_f32_e32 v231, v51, v231                              // 00000001471C: 0BCFCF33
	s_waitcnt lgkmcnt(0)                                       // 000000014720: BF8CC07F
	s_barrier                                                  // 000000014724: BF8A0000
	ds_read_b32 v64, v7 offset:16896                           // 000000014728: D86C4200 40000007
	ds_read_b32 v65, v7 offset:16960                           // 000000014730: D86C4240 41000007
	ds_read_b32 v66, v7 offset:17024                           // 000000014738: D86C4280 42000007
	ds_read_b32 v67, v7 offset:17088                           // 000000014740: D86C42C0 43000007
	ds_read_b32 v68, v7 offset:17152                           // 000000014748: D86C4300 44000007
	ds_read_b32 v69, v7 offset:17216                           // 000000014750: D86C4340 45000007
	ds_read_b32 v70, v7 offset:17280                           // 000000014758: D86C4380 46000007
	ds_read_b32 v71, v7 offset:17344                           // 000000014760: D86C43C0 47000007
	ds_read_b32 v72, v7 offset:17408                           // 000000014768: D86C4400 48000007
	ds_read_b32 v73, v7 offset:17472                           // 000000014770: D86C4440 49000007
	ds_read_b32 v74, v7 offset:17536                           // 000000014778: D86C4480 4A000007
	ds_read_b32 v75, v7 offset:17600                           // 000000014780: D86C44C0 4B000007
	ds_read_b32 v76, v7 offset:17664                           // 000000014788: D86C4500 4C000007
	ds_read_b32 v77, v7 offset:17728                           // 000000014790: D86C4540 4D000007
	ds_read_b32 v78, v7 offset:17792                           // 000000014798: D86C4580 4E000007
	ds_read_b32 v79, v7 offset:17856                           // 0000000147A0: D86C45C0 4F000007
	v_mul_f32_e32 v192, v46, v192                              // 0000000147A8: 0B81812E
	v_mul_f32_e32 v193, v46, v193                              // 0000000147AC: 0B83832E
	v_mul_f32_e32 v194, v46, v194                              // 0000000147B0: 0B85852E
	v_mul_f32_e32 v195, v46, v195                              // 0000000147B4: 0B87872E
	v_mul_f32_e32 v196, v46, v196                              // 0000000147B8: 0B89892E
	v_mul_f32_e32 v197, v46, v197                              // 0000000147BC: 0B8B8B2E
	v_mul_f32_e32 v198, v46, v198                              // 0000000147C0: 0B8D8D2E
	v_mul_f32_e32 v199, v46, v199                              // 0000000147C4: 0B8F8F2E
	s_waitcnt lgkmcnt(0)                                       // 0000000147C8: BF8CC07F
	v_max3_f32 v48, v64, v65, v48                              // 0000000147CC: D1D30030 04C28340
	v_max3_f32 v48, v66, v67, v48                              // 0000000147D4: D1D30030 04C28742
	v_max3_f32 v48, v68, v69, v48                              // 0000000147DC: D1D30030 04C28B44
	v_max3_f32 v48, v70, v71, v48                              // 0000000147E4: D1D30030 04C28F46
	v_max3_f32 v48, v72, v73, v48                              // 0000000147EC: D1D30030 04C29348
	v_max3_f32 v48, v74, v75, v48                              // 0000000147F4: D1D30030 04C2974A
	v_max3_f32 v48, v76, v77, v48                              // 0000000147FC: D1D30030 04C29B4C
	v_max3_f32 v48, v78, v79, v48                              // 000000014804: D1D30030 04C29F4E
	v_mov_b32_e32 v64, 0xff800000                              // 00000001480C: 7E8002FF FF800000
	v_cmp_eq_u32_e64 s[40:41], v64, v13                        // 000000014814: D0CA0028 00021B40
	s_nop 1                                                    // 00000001481C: BF800001
	v_max_f32_e32 v15, v48, v13                                // 000000014820: 161E1B30
	v_mul_f32_e32 v53, s64, v15                                // 000000014824: 0A6A1E40
	v_fma_f32 v144, v144, s64, -v53                            // 000000014828: D1CB0090 84D48190
	v_fma_f32 v145, v145, s64, -v53                            // 000000014830: D1CB0091 84D48191
	v_fma_f32 v146, v146, s64, -v53                            // 000000014838: D1CB0092 84D48192
	v_fma_f32 v147, v147, s64, -v53                            // 000000014840: D1CB0093 84D48193
	v_fma_f32 v148, v148, s64, -v53                            // 000000014848: D1CB0094 84D48194
	v_fma_f32 v149, v149, s64, -v53                            // 000000014850: D1CB0095 84D48195
	v_fma_f32 v150, v150, s64, -v53                            // 000000014858: D1CB0096 84D48196
	v_fma_f32 v151, v151, s64, -v53                            // 000000014860: D1CB0097 84D48197
	v_fma_f32 v152, v152, s64, -v53                            // 000000014868: D1CB0098 84D48198
	v_fma_f32 v153, v153, s64, -v53                            // 000000014870: D1CB0099 84D48199
	v_fma_f32 v154, v154, s64, -v53                            // 000000014878: D1CB009A 84D4819A
	v_fma_f32 v155, v155, s64, -v53                            // 000000014880: D1CB009B 84D4819B
	v_fma_f32 v156, v156, s64, -v53                            // 000000014888: D1CB009C 84D4819C
	v_fma_f32 v157, v157, s64, -v53                            // 000000014890: D1CB009D 84D4819D
	v_fma_f32 v158, v158, s64, -v53                            // 000000014898: D1CB009E 84D4819E
	v_fma_f32 v159, v159, s64, -v53                            // 0000000148A0: D1CB009F 84D4819F
	v_exp_f32_e32 v144, v144                                   // 0000000148A8: 7F204190
	v_exp_f32_e32 v145, v145                                   // 0000000148AC: 7F224191
	v_exp_f32_e32 v146, v146                                   // 0000000148B0: 7F244192
	v_exp_f32_e32 v147, v147                                   // 0000000148B4: 7F264193
	v_exp_f32_e32 v148, v148                                   // 0000000148B8: 7F284194
	v_exp_f32_e32 v149, v149                                   // 0000000148BC: 7F2A4195
	v_exp_f32_e32 v150, v150                                   // 0000000148C0: 7F2C4196
	v_exp_f32_e32 v151, v151                                   // 0000000148C4: 7F2E4197
	v_exp_f32_e32 v152, v152                                   // 0000000148C8: 7F304198
	v_exp_f32_e32 v153, v153                                   // 0000000148CC: 7F324199
	v_exp_f32_e32 v154, v154                                   // 0000000148D0: 7F34419A
	v_exp_f32_e32 v155, v155                                   // 0000000148D4: 7F36419B
	v_exp_f32_e32 v156, v156                                   // 0000000148D8: 7F38419C
	v_exp_f32_e32 v157, v157                                   // 0000000148DC: 7F3A419D
	v_exp_f32_e32 v158, v158                                   // 0000000148E0: 7F3C419E
	v_exp_f32_e32 v159, v159                                   // 0000000148E4: 7F3E419F
	v_mul_f32_dpp v240, v252, v144 quad_perm:[0,0,0,0] row_mask:0xf bank_mask:0xf// 0000000148E8: 0BE120FA FF0000FC
	v_mul_f32_dpp v241, v252, v145 quad_perm:[1,1,1,1] row_mask:0xf bank_mask:0xf// 0000000148F0: 0BE322FA FF0055FC
	v_mul_f32_dpp v242, v252, v146 quad_perm:[2,2,2,2] row_mask:0xf bank_mask:0xf// 0000000148F8: 0BE524FA FF00AAFC
	v_mul_f32_dpp v243, v252, v147 quad_perm:[3,3,3,3] row_mask:0xf bank_mask:0xf// 000000014900: 0BE726FA FF00FFFC
	v_mul_f32_dpp v244, v253, v148 quad_perm:[0,0,0,0] row_mask:0xf bank_mask:0xf// 000000014908: 0BE928FA FF0000FD
	v_mul_f32_dpp v245, v253, v149 quad_perm:[1,1,1,1] row_mask:0xf bank_mask:0xf// 000000014910: 0BEB2AFA FF0055FD
	v_mul_f32_dpp v246, v253, v150 quad_perm:[2,2,2,2] row_mask:0xf bank_mask:0xf// 000000014918: 0BED2CFA FF00AAFD
	v_mul_f32_dpp v247, v253, v151 quad_perm:[3,3,3,3] row_mask:0xf bank_mask:0xf// 000000014920: 0BEF2EFA FF00FFFD
	v_mul_f32_dpp v248, v254, v152 quad_perm:[0,0,0,0] row_mask:0xf bank_mask:0xf// 000000014928: 0BF130FA FF0000FE
	v_mul_f32_dpp v249, v254, v153 quad_perm:[1,1,1,1] row_mask:0xf bank_mask:0xf// 000000014930: 0BF332FA FF0055FE
	v_mul_f32_dpp v250, v254, v154 quad_perm:[2,2,2,2] row_mask:0xf bank_mask:0xf// 000000014938: 0BF534FA FF00AAFE
	v_mul_f32_dpp v251, v254, v155 quad_perm:[3,3,3,3] row_mask:0xf bank_mask:0xf// 000000014940: 0BF736FA FF00FFFE
	v_mul_f32_dpp v252, v255, v156 quad_perm:[0,0,0,0] row_mask:0xf bank_mask:0xf// 000000014948: 0BF938FA FF0000FF
	v_mul_f32_dpp v253, v255, v157 quad_perm:[1,1,1,1] row_mask:0xf bank_mask:0xf// 000000014950: 0BFB3AFA FF0055FF
	v_mul_f32_dpp v254, v255, v158 quad_perm:[2,2,2,2] row_mask:0xf bank_mask:0xf// 000000014958: 0BFD3CFA FF00AAFF
	v_mul_f32_dpp v255, v255, v159 quad_perm:[3,3,3,3] row_mask:0xf bank_mask:0xf// 000000014960: 0BFF3EFA FF00FFFF
	v_mov_b32_e32 v48, 0x358637bd                              // 000000014968: 7E6002FF 358637BD
	v_max3_f32 v48, |v240|, |v241|, v48                        // 000000014970: D1D30330 04C3E3F0
	v_max3_f32 v48, |v242|, |v243|, v48                        // 000000014978: D1D30330 04C3E7F2
	v_max3_f32 v48, |v244|, |v245|, v48                        // 000000014980: D1D30330 04C3EBF4
	v_max3_f32 v48, |v246|, |v247|, v48                        // 000000014988: D1D30330 04C3EFF6
	v_max3_f32 v48, |v248|, |v249|, v48                        // 000000014990: D1D30330 04C3F3F8
	v_max3_f32 v48, |v250|, |v251|, v48                        // 000000014998: D1D30330 04C3F7FA
	v_max3_f32 v48, |v252|, |v253|, v48                        // 0000000149A0: D1D30330 04C3FBFC
	v_max3_f32 v48, |v254|, |v255|, v48                        // 0000000149A8: D1D30330 04C3FFFE
	ds_write_b32 v8, v48 offset:20992                          // 0000000149B0: D81A5200 00003008
	v_sub_f32_e32 v51, v13, v15                                // 0000000149B8: 04661F0D
	v_cndmask_b32_e64 v51, v51, 0, s[40:41]                    // 0000000149BC: D1000033 00A10133
	v_mov_b32_e32 v13, v15                                     // 0000000149C4: 7E1A030F
	v_mul_f32_e32 v51, s64, v51                                // 0000000149C8: 0A666640
	v_exp_f32_e32 v51, v51                                     // 0000000149CC: 7E664133
	s_waitcnt lgkmcnt(0)                                       // 0000000149D0: BF8CC07F
	s_barrier                                                  // 0000000149D4: BF8A0000
	ds_read_b32 v64, v7 offset:20992                           // 0000000149D8: D86C5200 40000007
	ds_read_b32 v65, v7 offset:21056                           // 0000000149E0: D86C5240 41000007
	ds_read_b32 v66, v7 offset:21120                           // 0000000149E8: D86C5280 42000007
	ds_read_b32 v67, v7 offset:21184                           // 0000000149F0: D86C52C0 43000007
	ds_read_b32 v68, v7 offset:21248                           // 0000000149F8: D86C5300 44000007
	ds_read_b32 v69, v7 offset:21312                           // 000000014A00: D86C5340 45000007
	ds_read_b32 v70, v7 offset:21376                           // 000000014A08: D86C5380 46000007
	ds_read_b32 v71, v7 offset:21440                           // 000000014A10: D86C53C0 47000007
	ds_read_b32 v72, v7 offset:21504                           // 000000014A18: D86C5400 48000007
	ds_read_b32 v73, v7 offset:21568                           // 000000014A20: D86C5440 49000007
	ds_read_b32 v74, v7 offset:21632                           // 000000014A28: D86C5480 4A000007
	ds_read_b32 v75, v7 offset:21696                           // 000000014A30: D86C54C0 4B000007
	ds_read_b32 v76, v7 offset:21760                           // 000000014A38: D86C5500 4C000007
	ds_read_b32 v77, v7 offset:21824                           // 000000014A40: D86C5540 4D000007
	ds_read_b32 v78, v7 offset:21888                           // 000000014A48: D86C5580 4E000007
	ds_read_b32 v79, v7 offset:21952                           // 000000014A50: D86C55C0 4F000007
	v_mul_f32_e32 v40, v51, v40                                // 000000014A58: 0A505133
	v_mov_b32_e32 v15, v144                                    // 000000014A5C: 7E1E0390
	v_add_f32_e32 v15, v145, v15                               // 000000014A60: 021E1F91
	v_add_f32_e32 v15, v146, v15                               // 000000014A64: 021E1F92
	v_add_f32_e32 v15, v147, v15                               // 000000014A68: 021E1F93
	v_add_f32_e32 v15, v148, v15                               // 000000014A6C: 021E1F94
	v_add_f32_e32 v15, v149, v15                               // 000000014A70: 021E1F95
	v_add_f32_e32 v15, v150, v15                               // 000000014A74: 021E1F96
	v_add_f32_e32 v15, v151, v15                               // 000000014A78: 021E1F97
	v_add_f32_e32 v15, v152, v15                               // 000000014A7C: 021E1F98
	v_add_f32_e32 v15, v153, v15                               // 000000014A80: 021E1F99
	v_add_f32_e32 v15, v154, v15                               // 000000014A84: 021E1F9A
	v_add_f32_e32 v15, v155, v15                               // 000000014A88: 021E1F9B
	v_add_f32_e32 v15, v156, v15                               // 000000014A8C: 021E1F9C
	v_add_f32_e32 v15, v157, v15                               // 000000014A90: 021E1F9D
	v_add_f32_e32 v15, v158, v15                               // 000000014A94: 021E1F9E
	v_add_f32_e32 v15, v159, v15                               // 000000014A98: 021E1F9F
	v_add_f32_e32 v40, v15, v40                                // 000000014A9C: 0250510F
	s_waitcnt lgkmcnt(0)                                       // 000000014AA0: BF8CC07F
	v_max3_f32 v48, |v64|, |v65|, v48                          // 000000014AA4: D1D30330 04C28340
	v_max3_f32 v48, |v66|, |v67|, v48                          // 000000014AAC: D1D30330 04C28742
	v_max3_f32 v48, |v68|, |v69|, v48                          // 000000014AB4: D1D30330 04C28B44
	v_max3_f32 v48, |v70|, |v71|, v48                          // 000000014ABC: D1D30330 04C28F46
	v_max3_f32 v48, |v72|, |v73|, v48                          // 000000014AC4: D1D30330 04C29348
	v_max3_f32 v48, |v74|, |v75|, v48                          // 000000014ACC: D1D30330 04C2974A
	v_max3_f32 v48, |v76|, |v77|, v48                          // 000000014AD4: D1D30330 04C29B4C
	v_max3_f32 v48, |v78|, |v79|, v48                          // 000000014ADC: D1D30330 04C29F4E
	s_nop 2                                                    // 000000014AE4: BF800002
	v_rcp_f32_e32 v48, v48                                     // 000000014AE8: 7E604530
	s_nop 1                                                    // 000000014AEC: BF800001
	v_mul_f32_e32 v48, 0x43e00000, v48                         // 000000014AF0: 0A6060FF 43E00000
	v_mul_f32_e32 v144, v48, v240                              // 000000014AF8: 0B21E130
	v_mul_f32_e32 v145, v48, v241                              // 000000014AFC: 0B23E330
	v_mul_f32_e32 v146, v48, v242                              // 000000014B00: 0B25E530
	v_mul_f32_e32 v147, v48, v243                              // 000000014B04: 0B27E730
	v_mul_f32_e32 v148, v48, v244                              // 000000014B08: 0B29E930
	v_mul_f32_e32 v149, v48, v245                              // 000000014B0C: 0B2BEB30
	v_mul_f32_e32 v150, v48, v246                              // 000000014B10: 0B2DED30
	v_mul_f32_e32 v151, v48, v247                              // 000000014B14: 0B2FEF30
	v_mul_f32_e32 v152, v48, v248                              // 000000014B18: 0B31F130
	v_mul_f32_e32 v153, v48, v249                              // 000000014B1C: 0B33F330
	v_mul_f32_e32 v154, v48, v250                              // 000000014B20: 0B35F530
	v_mul_f32_e32 v155, v48, v251                              // 000000014B24: 0B37F730
	v_mul_f32_e32 v156, v48, v252                              // 000000014B28: 0B39F930
	v_mul_f32_e32 v157, v48, v253                              // 000000014B2C: 0B3BFB30
	v_mul_f32_e32 v158, v48, v254                              // 000000014B30: 0B3DFD30
	v_mul_f32_e32 v159, v48, v255                              // 000000014B34: 0B3FFF30
	v_cvt_pk_fp8_f32 v144, v144, v145                          // 000000014B38: D2A20090 00032390
	v_cvt_pk_fp8_f32 v144, v146, v147 op_sel:[0,0,1]           // 000000014B40: D2A24090 00032792
	v_cvt_pk_fp8_f32 v145, v148, v149                          // 000000014B48: D2A20091 00032B94
	v_cvt_pk_fp8_f32 v145, v150, v151 op_sel:[0,0,1]           // 000000014B50: D2A24091 00032F96
	v_cvt_pk_fp8_f32 v146, v152, v153                          // 000000014B58: D2A20092 00033398
	v_cvt_pk_fp8_f32 v146, v154, v155 op_sel:[0,0,1]           // 000000014B60: D2A24092 0003379A
	v_cvt_pk_fp8_f32 v147, v156, v157                          // 000000014B68: D2A20093 00033B9C
	v_cvt_pk_fp8_f32 v147, v158, v159 op_sel:[0,0,1]           // 000000014B70: D2A24093 00033F9E
	ds_write_b32 v10, v144 offset:33280                        // 000000014B78: D81A8200 0000900A
	ds_write_b32 v10, v145 offset:34304                        // 000000014B80: D81A8600 0000910A
	ds_write_b32 v10, v146 offset:35328                        // 000000014B88: D81A8A00 0000920A
	ds_write_b32 v10, v147 offset:36352                        // 000000014B90: D81A8E00 0000930A
	v_add_f32_e32 v224, v224, v192                             // 000000014B98: 03C181E0
	v_add_f32_e32 v225, v225, v193                             // 000000014B9C: 03C383E1
	v_add_f32_e32 v226, v226, v194                             // 000000014BA0: 03C585E2
	v_add_f32_e32 v227, v227, v195                             // 000000014BA4: 03C787E3
	v_add_f32_e32 v228, v228, v196                             // 000000014BA8: 03C989E4
	v_add_f32_e32 v229, v229, v197                             // 000000014BAC: 03CB8BE5
	v_add_f32_e32 v230, v230, v198                             // 000000014BB0: 03CD8DE6
	v_add_f32_e32 v231, v231, v199                             // 000000014BB4: 03CF8FE7
	v_rcp_f32_e32 v46, v48                                     // 000000014BB8: 7E5C4530
	s_waitcnt lgkmcnt(0)                                       // 000000014BBC: BF8CC07F
	s_barrier                                                  // 000000014BC0: BF8A0000
	ds_read_b64 v[144:145], v9 offset:33280                    // 000000014BC4: D8EC8200 90000009
	ds_read_b64 v[146:147], v9 offset:33408                    // 000000014BCC: D8EC8280 92000009
	ds_read_b64 v[148:149], v9 offset:34304                    // 000000014BD4: D8EC8600 94000009
	ds_read_b64 v[150:151], v9 offset:34432                    // 000000014BDC: D8EC8680 96000009
	ds_read_b64 v[152:153], v9 offset:35328                    // 000000014BE4: D8EC8A00 98000009
	ds_read_b64 v[154:155], v9 offset:35456                    // 000000014BEC: D8EC8A80 9A000009
	ds_read_b64 v[156:157], v9 offset:36352                    // 000000014BF4: D8EC8E00 9C000009
	ds_read_b64 v[158:159], v9 offset:36480                    // 000000014BFC: D8EC8E80 9E000009
	s_waitcnt vmcnt(15)                                        // 000000014C04: BF8C0F7F
	v_mfma_f32_16x16x32_fp8_fp8 v[176:179], a[96:97], v[112:113], 0// 000000014C08: D3F300B0 0A02E160
	buffer_load_dwordx4 a[80:83], v30, s[20:23], 0 offen offset:1024// 000000014C10: E05C1400 8085501E
	v_mfma_f32_16x16x32_fp8_fp8 v[176:179], a[98:99], v[114:115], v[176:179]// 000000014C18: D3F300B0 0EC2E562
	v_mfma_f32_16x16x32_fp8_fp8 v[176:179], a[100:101], v[116:117], v[176:179]// 000000014C20: D3F300B0 0EC2E964
	v_mfma_f32_16x16x32_fp8_fp8 v[176:179], a[102:103], v[118:119], v[176:179]// 000000014C28: D3F300B0 0EC2ED66
	v_mfma_f32_16x16x32_fp8_fp8 v[176:179], a[104:105], v[120:121], v[176:179]// 000000014C30: D3F300B0 0EC2F168
	buffer_load_dwordx4 a[84:87], v31, s[20:23], 0 offen offset:1024// 000000014C38: E05C1400 8085541F
	v_mfma_f32_16x16x32_fp8_fp8 v[176:179], a[106:107], v[122:123], v[176:179]// 000000014C40: D3F300B0 0EC2F56A
	v_mfma_f32_16x16x32_fp8_fp8 v[176:179], a[108:109], v[124:125], v[176:179]// 000000014C48: D3F300B0 0EC2F96C
	v_mfma_f32_16x16x32_fp8_fp8 v[176:179], a[110:111], v[126:127], v[176:179]// 000000014C50: D3F300B0 0EC2FD6E
	v_mfma_f32_16x16x32_fp8_fp8 v[180:183], a[112:113], v[112:113], 0// 000000014C58: D3F300B4 0A02E170
	buffer_load_dwordx4 a[88:91], v32, s[20:23], 0 offen offset:1024// 000000014C60: E05C1400 80855820
	v_mfma_f32_16x16x32_fp8_fp8 v[180:183], a[114:115], v[114:115], v[180:183]// 000000014C68: D3F300B4 0ED2E572
	v_mfma_f32_16x16x32_fp8_fp8 v[180:183], a[116:117], v[116:117], v[180:183]// 000000014C70: D3F300B4 0ED2E974
	v_mfma_f32_16x16x32_fp8_fp8 v[180:183], a[118:119], v[118:119], v[180:183]// 000000014C78: D3F300B4 0ED2ED76
	v_mfma_f32_16x16x32_fp8_fp8 v[180:183], a[120:121], v[120:121], v[180:183]// 000000014C80: D3F300B4 0ED2F178
	buffer_load_dwordx4 a[92:95], v33, s[20:23], 0 offen offset:1024// 000000014C88: E05C1400 80855C21
	v_mfma_f32_16x16x32_fp8_fp8 v[180:183], a[122:123], v[122:123], v[180:183]// 000000014C90: D3F300B4 0ED2F57A
	v_mfma_f32_16x16x32_fp8_fp8 v[180:183], a[124:125], v[124:125], v[180:183]// 000000014C98: D3F300B4 0ED2F97C
	s_lshr_b32 s57, s70, 4                                     // 000000014CA0: 8F398446
	s_add_u32 s57, 48, s57                                     // 000000014CA4: 803939B0
	v_mfma_f32_16x16x32_fp8_fp8 v[180:183], a[126:127], v[126:127], v[180:183]// 000000014CA8: D3F300B4 0ED2FD7E
	s_cmp_ge_u32 s57, s73                                      // 000000014CB0: BF094939
	s_cselect_b32 s56, 0, s56                                  // 000000014CB4: 85383880
	v_mfma_f32_16x16x32_fp8_fp8 v[184:187], a[96:97], v[128:129], 0// 000000014CB8: D3F300B8 0A030160
	v_mfma_f32_16x16x32_fp8_fp8 v[184:187], a[98:99], v[130:131], v[184:187]// 000000014CC0: D3F300B8 0EE30562
	v_mfma_f32_16x16x32_fp8_fp8 v[184:187], a[100:101], v[132:133], v[184:187]// 000000014CC8: D3F300B8 0EE30964
	v_mfma_f32_16x16x32_fp8_fp8 v[184:187], a[102:103], v[134:135], v[184:187]// 000000014CD0: D3F300B8 0EE30D66
	v_mfma_f32_16x16x32_fp8_fp8 v[184:187], a[104:105], v[136:137], v[184:187]// 000000014CD8: D3F300B8 0EE31168
	v_mfma_f32_16x16x32_fp8_fp8 v[184:187], a[106:107], v[138:139], v[184:187]// 000000014CE0: D3F300B8 0EE3156A
	v_mfma_f32_16x16x32_fp8_fp8 v[184:187], a[108:109], v[140:141], v[184:187]// 000000014CE8: D3F300B8 0EE3196C
	v_mfma_f32_16x16x32_fp8_fp8 v[184:187], a[110:111], v[142:143], v[184:187]// 000000014CF0: D3F300B8 0EE31D6E
	v_mfma_f32_16x16x32_fp8_fp8 v[188:191], a[112:113], v[128:129], 0// 000000014CF8: D3F300BC 0A030170
	v_mfma_f32_16x16x32_fp8_fp8 v[188:191], a[114:115], v[130:131], v[188:191]// 000000014D00: D3F300BC 0EF30572
	v_mfma_f32_16x16x32_fp8_fp8 v[188:191], a[116:117], v[132:133], v[188:191]// 000000014D08: D3F300BC 0EF30974
	v_mfma_f32_16x16x32_fp8_fp8 v[188:191], a[118:119], v[134:135], v[188:191]// 000000014D10: D3F300BC 0EF30D76
	v_mfma_f32_16x16x32_fp8_fp8 v[188:191], a[120:121], v[136:137], v[188:191]// 000000014D18: D3F300BC 0EF31178
	v_mfma_f32_16x16x32_fp8_fp8 v[188:191], a[122:123], v[138:139], v[188:191]// 000000014D20: D3F300BC 0EF3157A
	v_mfma_f32_16x16x32_fp8_fp8 v[188:191], a[124:125], v[140:141], v[188:191]// 000000014D28: D3F300BC 0EF3197C
	v_mfma_f32_16x16x32_fp8_fp8 v[188:191], a[126:127], v[142:143], v[188:191]// 000000014D30: D3F300BC 0EF31D7E
	v_mfma_f32_16x16x32_fp8_fp8 v[192:195], a[96:97], v[144:145], 0// 000000014D38: D3F300C0 0A032160
	v_mfma_f32_16x16x32_fp8_fp8 v[192:195], a[98:99], v[146:147], v[192:195]// 000000014D40: D3F300C0 0F032562
	v_mfma_f32_16x16x32_fp8_fp8 v[192:195], a[100:101], v[148:149], v[192:195]// 000000014D48: D3F300C0 0F032964
	v_mfma_f32_16x16x32_fp8_fp8 v[192:195], a[102:103], v[150:151], v[192:195]// 000000014D50: D3F300C0 0F032D66
	v_mfma_f32_16x16x32_fp8_fp8 v[192:195], a[104:105], v[152:153], v[192:195]// 000000014D58: D3F300C0 0F033168
	v_mfma_f32_16x16x32_fp8_fp8 v[192:195], a[106:107], v[154:155], v[192:195]// 000000014D60: D3F300C0 0F03356A
	v_mfma_f32_16x16x32_fp8_fp8 v[192:195], a[108:109], v[156:157], v[192:195]// 000000014D68: D3F300C0 0F03396C
	v_mfma_f32_16x16x32_fp8_fp8 v[192:195], a[110:111], v[158:159], v[192:195]// 000000014D70: D3F300C0 0F033D6E
	v_mfma_f32_16x16x32_fp8_fp8 v[196:199], a[112:113], v[144:145], 0// 000000014D78: D3F300C4 0A032170
	v_mfma_f32_16x16x32_fp8_fp8 v[196:199], a[114:115], v[146:147], v[196:199]// 000000014D80: D3F300C4 0F132572
	v_mfma_f32_16x16x32_fp8_fp8 v[196:199], a[116:117], v[148:149], v[196:199]// 000000014D88: D3F300C4 0F132974
	v_mfma_f32_16x16x32_fp8_fp8 v[196:199], a[118:119], v[150:151], v[196:199]// 000000014D90: D3F300C4 0F132D76
	v_mfma_f32_16x16x32_fp8_fp8 v[196:199], a[120:121], v[152:153], v[196:199]// 000000014D98: D3F300C4 0F133178
	v_mfma_f32_16x16x32_fp8_fp8 v[196:199], a[122:123], v[154:155], v[196:199]// 000000014DA0: D3F300C4 0F13357A
	v_mfma_f32_16x16x32_fp8_fp8 v[196:199], a[124:125], v[156:157], v[196:199]// 000000014DA8: D3F300C4 0F13397C
	v_mfma_f32_16x16x32_fp8_fp8 v[196:199], a[126:127], v[158:159], v[196:199]// 000000014DB0: D3F300C4 0F133D7E
	v_add_u32_e32 v1, s56, v1                                  // 000000014DB8: 68020238
	s_addk_i32 s70, 0x100                                      // 000000014DBC: B7460100
	s_cmp_lt_i32 s70, s71                                      // 000000014DC0: BF044746
	s_cbranch_scc0 label_3E83                                  // 000000014DC4: BF84F391
	s_branch label_3E86                                        // 000000014DC8: BF82F393

0000000000014dcc <label_4AF3>:
	s_lshr_b32 s60, s71, 4                                     // 000000014DCC: 8F3C8447
	s_cmp_eq_i32 s60, s73                                      // 000000014DD0: BF00493C
	s_cbranch_scc1 label_5976                                  // 000000014DD4: BF850E80
	s_lshr_b32 s60, s71, 8                                     // 000000014DD8: 8F3C8847
	s_and_b32 s60, s60, 1                                      // 000000014DDC: 863C813C
	s_cmp_eq_i32 s60, 1                                        // 000000014DE0: BF00813C
	s_cbranch_scc1 label_5238                                  // 000000014DE4: BF85073E
	s_waitcnt vmcnt(8) lgkmcnt(0)                              // 000000014DE8: BF8C0078
	s_barrier                                                  // 000000014DEC: BF8A0000
	v_mfma_f32_16x16x32_fp8_fp8 v[112:115], a[0:1], v[80:81], 0// 000000014DF0: D3F30070 0A02A100
	v_mfma_f32_16x16x32_fp8_fp8 v[112:115], a[2:3], v[82:83], v[112:115]// 000000014DF8: D3F30070 0DC2A502
	v_mfma_f32_16x16x32_fp8_fp8 v[112:115], a[4:5], v[84:85], v[112:115]// 000000014E00: D3F30070 0DC2A904
	v_mfma_f32_16x16x32_fp8_fp8 v[112:115], a[6:7], v[86:87], v[112:115]// 000000014E08: D3F30070 0DC2AD06
	v_mfma_f32_16x16x32_fp8_fp8 v[116:119], a[8:9], v[80:81], 0// 000000014E10: D3F30074 0A02A108
	v_mfma_f32_16x16x32_fp8_fp8 v[116:119], a[10:11], v[82:83], v[116:119]// 000000014E18: D3F30074 0DD2A50A
	v_mfma_f32_16x16x32_fp8_fp8 v[116:119], a[12:13], v[84:85], v[116:119]// 000000014E20: D3F30074 0DD2A90C
	v_mfma_f32_16x16x32_fp8_fp8 v[116:119], a[14:15], v[86:87], v[116:119]// 000000014E28: D3F30074 0DD2AD0E
	v_mfma_f32_16x16x32_fp8_fp8 v[120:123], a[16:17], v[80:81], 0// 000000014E30: D3F30078 0A02A110
	v_mfma_f32_16x16x32_fp8_fp8 v[120:123], a[18:19], v[82:83], v[120:123]// 000000014E38: D3F30078 0DE2A512
	v_mfma_f32_16x16x32_fp8_fp8 v[120:123], a[20:21], v[84:85], v[120:123]// 000000014E40: D3F30078 0DE2A914
	v_mfma_f32_16x16x32_fp8_fp8 v[120:123], a[22:23], v[86:87], v[120:123]// 000000014E48: D3F30078 0DE2AD16
	v_mfma_f32_16x16x32_fp8_fp8 v[124:127], a[24:25], v[80:81], 0// 000000014E50: D3F3007C 0A02A118
	v_mfma_f32_16x16x32_fp8_fp8 v[124:127], a[26:27], v[82:83], v[124:127]// 000000014E58: D3F3007C 0DF2A51A
	v_mfma_f32_16x16x32_fp8_fp8 v[124:127], a[28:29], v[84:85], v[124:127]// 000000014E60: D3F3007C 0DF2A91C
	v_mfma_f32_16x16x32_fp8_fp8 v[124:127], a[30:31], v[86:87], v[124:127]// 000000014E68: D3F3007C 0DF2AD1E
	v_mfma_f32_16x16x32_fp8_fp8 v[128:131], a[0:1], v[88:89], 0// 000000014E70: D3F30080 0A02B100
	v_mfma_f32_16x16x32_fp8_fp8 v[128:131], a[2:3], v[90:91], v[128:131]// 000000014E78: D3F30080 0E02B502
	v_mfma_f32_16x16x32_fp8_fp8 v[128:131], a[4:5], v[92:93], v[128:131]// 000000014E80: D3F30080 0E02B904
	v_mfma_f32_16x16x32_fp8_fp8 v[128:131], a[6:7], v[94:95], v[128:131]// 000000014E88: D3F30080 0E02BD06
	v_mfma_f32_16x16x32_fp8_fp8 v[132:135], a[8:9], v[88:89], 0// 000000014E90: D3F30084 0A02B108
	v_mfma_f32_16x16x32_fp8_fp8 v[132:135], a[10:11], v[90:91], v[132:135]// 000000014E98: D3F30084 0E12B50A
	v_mfma_f32_16x16x32_fp8_fp8 v[132:135], a[12:13], v[92:93], v[132:135]// 000000014EA0: D3F30084 0E12B90C
	v_mfma_f32_16x16x32_fp8_fp8 v[132:135], a[14:15], v[94:95], v[132:135]// 000000014EA8: D3F30084 0E12BD0E
	v_mfma_f32_16x16x32_fp8_fp8 v[136:139], a[16:17], v[88:89], 0// 000000014EB0: D3F30088 0A02B110
	v_mfma_f32_16x16x32_fp8_fp8 v[136:139], a[18:19], v[90:91], v[136:139]// 000000014EB8: D3F30088 0E22B512
	v_mfma_f32_16x16x32_fp8_fp8 v[136:139], a[20:21], v[92:93], v[136:139]// 000000014EC0: D3F30088 0E22B914
	v_mfma_f32_16x16x32_fp8_fp8 v[136:139], a[22:23], v[94:95], v[136:139]// 000000014EC8: D3F30088 0E22BD16
	v_mfma_f32_16x16x32_fp8_fp8 v[140:143], a[24:25], v[88:89], 0// 000000014ED0: D3F3008C 0A02B118
	v_mfma_f32_16x16x32_fp8_fp8 v[140:143], a[26:27], v[90:91], v[140:143]// 000000014ED8: D3F3008C 0E32B51A
	v_mfma_f32_16x16x32_fp8_fp8 v[140:143], a[28:29], v[92:93], v[140:143]// 000000014EE0: D3F3008C 0E32B91C
	v_mfma_f32_16x16x32_fp8_fp8 v[140:143], a[30:31], v[94:95], v[140:143]// 000000014EE8: D3F3008C 0E32BD1E
	v_mfma_f32_16x16x32_fp8_fp8 v[144:147], a[0:1], v[96:97], 0// 000000014EF0: D3F30090 0A02C100
	v_mfma_f32_16x16x32_fp8_fp8 v[144:147], a[2:3], v[98:99], v[144:147]// 000000014EF8: D3F30090 0E42C502
	v_mfma_f32_16x16x32_fp8_fp8 v[144:147], a[4:5], v[100:101], v[144:147]// 000000014F00: D3F30090 0E42C904
	v_mfma_f32_16x16x32_fp8_fp8 v[144:147], a[6:7], v[102:103], v[144:147]// 000000014F08: D3F30090 0E42CD06
	v_mfma_f32_16x16x32_fp8_fp8 v[148:151], a[8:9], v[96:97], 0// 000000014F10: D3F30094 0A02C108
	v_mfma_f32_16x16x32_fp8_fp8 v[148:151], a[10:11], v[98:99], v[148:151]// 000000014F18: D3F30094 0E52C50A
	v_mfma_f32_16x16x32_fp8_fp8 v[148:151], a[12:13], v[100:101], v[148:151]// 000000014F20: D3F30094 0E52C90C
	v_mfma_f32_16x16x32_fp8_fp8 v[148:151], a[14:15], v[102:103], v[148:151]// 000000014F28: D3F30094 0E52CD0E
	v_mfma_f32_16x16x32_fp8_fp8 v[152:155], a[16:17], v[96:97], 0// 000000014F30: D3F30098 0A02C110
	v_mfma_f32_16x16x32_fp8_fp8 v[152:155], a[18:19], v[98:99], v[152:155]// 000000014F38: D3F30098 0E62C512
	v_mfma_f32_16x16x32_fp8_fp8 v[152:155], a[20:21], v[100:101], v[152:155]// 000000014F40: D3F30098 0E62C914
	v_mfma_f32_16x16x32_fp8_fp8 v[152:155], a[22:23], v[102:103], v[152:155]// 000000014F48: D3F30098 0E62CD16
	v_mfma_f32_16x16x32_fp8_fp8 v[156:159], a[24:25], v[96:97], 0// 000000014F50: D3F3009C 0A02C118
	v_mfma_f32_16x16x32_fp8_fp8 v[156:159], a[26:27], v[98:99], v[156:159]// 000000014F58: D3F3009C 0E72C51A
	v_mfma_f32_16x16x32_fp8_fp8 v[156:159], a[28:29], v[100:101], v[156:159]// 000000014F60: D3F3009C 0E72C91C
	v_mfma_f32_16x16x32_fp8_fp8 v[156:159], a[30:31], v[102:103], v[156:159]// 000000014F68: D3F3009C 0E72CD1E
	v_mov_b32_dpp v64, v42 row_shr:4 row_mask:0xf bank_mask:0xf// 000000014F70: 7E8002FA FF01142A
	v_mov_b32_dpp v65, v42 row_shl:4 row_mask:0xf bank_mask:0xf// 000000014F78: 7E8202FA FF01042A
	v_cndmask_b32_e64 v248, v42, v64, s[44:45]                 // 000000014F80: D10000F8 00B2812A
	v_cndmask_b32_e64 v249, v65, v42, s[44:45]                 // 000000014F88: D10000F9 00B25541
	v_mov_b32_dpp v64, v248 row_shr:8 row_mask:0xf bank_mask:0xf// 000000014F90: 7E8002FA FF0118F8
	v_mov_b32_dpp v65, v248 row_shl:8 row_mask:0xf bank_mask:0xf// 000000014F98: 7E8202FA FF0108F8
	v_mov_b32_dpp v66, v249 row_shr:8 row_mask:0xf bank_mask:0xf// 000000014FA0: 7E8402FA FF0118F9
	v_mov_b32_dpp v67, v249 row_shl:8 row_mask:0xf bank_mask:0xf// 000000014FA8: 7E8602FA FF0108F9
	v_mov_b32_e32 v68, v248                                    // 000000014FB0: 7E8803F8
	v_mov_b32_e32 v69, v249                                    // 000000014FB4: 7E8A03F9
	v_cndmask_b32_e64 v248, v68, v64, s[42:43]                 // 000000014FB8: D10000F8 00AA8144
	v_cndmask_b32_e64 v250, v68, v65, s[78:79]                 // 000000014FC0: D10000FA 013A8344
	v_cndmask_b32_e64 v249, v69, v66, s[42:43]                 // 000000014FC8: D10000F9 00AA8545
	v_cndmask_b32_e64 v251, v69, v67, s[78:79]                 // 000000014FD0: D10000FB 013A8745
	v_mov_b32_dpp v64, v57 row_shr:4 row_mask:0xf bank_mask:0xf// 000000014FD8: 7E8002FA FF011439
	v_mov_b32_dpp v65, v57 row_shl:4 row_mask:0xf bank_mask:0xf// 000000014FE0: 7E8202FA FF010439
	v_cndmask_b32_e64 v252, v57, v64, s[44:45]                 // 000000014FE8: D10000FC 00B28139
	v_cndmask_b32_e64 v253, v65, v57, s[44:45]                 // 000000014FF0: D10000FD 00B27341
	v_mov_b32_dpp v64, v252 row_shr:8 row_mask:0xf bank_mask:0xf// 000000014FF8: 7E8002FA FF0118FC
	v_mov_b32_dpp v65, v252 row_shl:8 row_mask:0xf bank_mask:0xf// 000000015000: 7E8202FA FF0108FC
	v_mov_b32_dpp v66, v253 row_shr:8 row_mask:0xf bank_mask:0xf// 000000015008: 7E8402FA FF0118FD
	v_mov_b32_dpp v67, v253 row_shl:8 row_mask:0xf bank_mask:0xf// 000000015010: 7E8602FA FF0108FD
	v_mov_b32_e32 v68, v252                                    // 000000015018: 7E8803FC
	v_mov_b32_e32 v69, v253                                    // 00000001501C: 7E8A03FD
	v_cndmask_b32_e64 v252, v68, v64, s[42:43]                 // 000000015020: D10000FC 00AA8144
	v_cndmask_b32_e64 v254, v68, v65, s[78:79]                 // 000000015028: D10000FE 013A8344
	v_cndmask_b32_e64 v253, v69, v66, s[42:43]                 // 000000015030: D10000FD 00AA8545
	v_cndmask_b32_e64 v255, v69, v67, s[78:79]                 // 000000015038: D10000FF 013A8745
	v_mul_f32_e32 v112, v18, v112                              // 000000015040: 0AE0E112
	v_mul_f32_e32 v113, v18, v113                              // 000000015044: 0AE2E312
	v_mul_f32_e32 v114, v18, v114                              // 000000015048: 0AE4E512
	v_mul_f32_e32 v115, v18, v115                              // 00000001504C: 0AE6E712
	v_mul_f32_e32 v116, v18, v116                              // 000000015050: 0AE8E912
	v_mul_f32_e32 v117, v18, v117                              // 000000015054: 0AEAEB12
	v_mul_f32_e32 v118, v18, v118                              // 000000015058: 0AECED12
	v_mul_f32_e32 v119, v18, v119                              // 00000001505C: 0AEEEF12
	v_mul_f32_e32 v120, v18, v120                              // 000000015060: 0AF0F112
	v_mul_f32_e32 v121, v18, v121                              // 000000015064: 0AF2F312
	v_mul_f32_e32 v122, v18, v122                              // 000000015068: 0AF4F512
	v_mul_f32_e32 v123, v18, v123                              // 00000001506C: 0AF6F712
	v_mul_f32_e32 v124, v18, v124                              // 000000015070: 0AF8F912
	v_mul_f32_e32 v125, v18, v125                              // 000000015074: 0AFAFB12
	v_mul_f32_e32 v126, v18, v126                              // 000000015078: 0AFCFD12
	v_mul_f32_e32 v127, v18, v127                              // 00000001507C: 0AFEFF12
	v_mul_f32_dpp v112, v248, v112 quad_perm:[0,0,0,0] row_mask:0xf bank_mask:0xf// 000000015080: 0AE0E0FA FF0000F8
	v_mul_f32_dpp v113, v248, v113 quad_perm:[1,1,1,1] row_mask:0xf bank_mask:0xf// 000000015088: 0AE2E2FA FF0055F8
	v_mul_f32_dpp v114, v248, v114 quad_perm:[2,2,2,2] row_mask:0xf bank_mask:0xf// 000000015090: 0AE4E4FA FF00AAF8
	v_mul_f32_dpp v115, v248, v115 quad_perm:[3,3,3,3] row_mask:0xf bank_mask:0xf// 000000015098: 0AE6E6FA FF00FFF8
	v_mul_f32_dpp v116, v249, v116 quad_perm:[0,0,0,0] row_mask:0xf bank_mask:0xf// 0000000150A0: 0AE8E8FA FF0000F9
	v_mul_f32_dpp v117, v249, v117 quad_perm:[1,1,1,1] row_mask:0xf bank_mask:0xf// 0000000150A8: 0AEAEAFA FF0055F9
	v_mul_f32_dpp v118, v249, v118 quad_perm:[2,2,2,2] row_mask:0xf bank_mask:0xf// 0000000150B0: 0AECECFA FF00AAF9
	v_mul_f32_dpp v119, v249, v119 quad_perm:[3,3,3,3] row_mask:0xf bank_mask:0xf// 0000000150B8: 0AEEEEFA FF00FFF9
	v_mul_f32_dpp v120, v250, v120 quad_perm:[0,0,0,0] row_mask:0xf bank_mask:0xf// 0000000150C0: 0AF0F0FA FF0000FA
	v_mul_f32_dpp v121, v250, v121 quad_perm:[1,1,1,1] row_mask:0xf bank_mask:0xf// 0000000150C8: 0AF2F2FA FF0055FA
	v_mul_f32_dpp v122, v250, v122 quad_perm:[2,2,2,2] row_mask:0xf bank_mask:0xf// 0000000150D0: 0AF4F4FA FF00AAFA
	v_mul_f32_dpp v123, v250, v123 quad_perm:[3,3,3,3] row_mask:0xf bank_mask:0xf// 0000000150D8: 0AF6F6FA FF00FFFA
	v_mul_f32_dpp v124, v251, v124 quad_perm:[0,0,0,0] row_mask:0xf bank_mask:0xf// 0000000150E0: 0AF8F8FA FF0000FB
	v_mul_f32_dpp v125, v251, v125 quad_perm:[1,1,1,1] row_mask:0xf bank_mask:0xf// 0000000150E8: 0AFAFAFA FF0055FB
	v_mul_f32_dpp v126, v251, v126 quad_perm:[2,2,2,2] row_mask:0xf bank_mask:0xf// 0000000150F0: 0AFCFCFA FF00AAFB
	v_mul_f32_dpp v127, v251, v127 quad_perm:[3,3,3,3] row_mask:0xf bank_mask:0xf// 0000000150F8: 0AFEFEFA FF00FFFB
	s_and_b32 s60, s72, 0xff                                   // 000000015100: 863CFF48 000000FF
	v_mov_b32_e32 v65, s60                                     // 000000015108: 7E82023C
	v_lshrrev_b32_e32 v240, 4, v0                              // 00000001510C: 21E00084
	v_mul_i32_i24_e32 v240, 4, v240                            // 000000015110: 0DE1E084
	s_mul_i32 s60, s7, 16                                      // 000000015114: 923C9007
	v_add_u32_e32 v240, s60, v240                              // 000000015118: 69E1E03C
	v_add_u32_e32 v241, 1, v240                                // 00000001511C: 69E3E081
	v_add_u32_e32 v242, 2, v240                                // 000000015120: 69E5E082
	v_add_u32_e32 v243, 3, v240                                // 000000015124: 69E7E083
	v_mov_b32_e32 v64, 0xff800000                              // 000000015128: 7E8002FF FF800000
	v_cmp_lt_u32_e64 s[40:41], v240, v65                       // 000000015130: D0C90028 000283F0
	v_add_u32_e32 v240, 64, v240                               // 000000015138: 69E1E0C0
	s_nop 0                                                    // 00000001513C: BF800000
	v_cndmask_b32_e64 v112, v64, v112, s[40:41]                // 000000015140: D1000070 00A2E140
	v_cmp_lt_u32_e64 s[40:41], v241, v65                       // 000000015148: D0C90028 000283F1
	v_add_u32_e32 v241, 64, v241                               // 000000015150: 69E3E2C0
	s_nop 0                                                    // 000000015154: BF800000
	v_cndmask_b32_e64 v113, v64, v113, s[40:41]                // 000000015158: D1000071 00A2E340
	v_cmp_lt_u32_e64 s[40:41], v242, v65                       // 000000015160: D0C90028 000283F2
	v_add_u32_e32 v242, 64, v242                               // 000000015168: 69E5E4C0
	s_nop 0                                                    // 00000001516C: BF800000
	v_cndmask_b32_e64 v114, v64, v114, s[40:41]                // 000000015170: D1000072 00A2E540
	v_cmp_lt_u32_e64 s[40:41], v243, v65                       // 000000015178: D0C90028 000283F3
	v_add_u32_e32 v243, 64, v243                               // 000000015180: 69E7E6C0
	s_nop 0                                                    // 000000015184: BF800000
	v_cndmask_b32_e64 v115, v64, v115, s[40:41]                // 000000015188: D1000073 00A2E740
	v_cmp_lt_u32_e64 s[40:41], v240, v65                       // 000000015190: D0C90028 000283F0
	v_add_u32_e32 v240, 64, v240                               // 000000015198: 69E1E0C0
	s_nop 0                                                    // 00000001519C: BF800000
	v_cndmask_b32_e64 v116, v64, v116, s[40:41]                // 0000000151A0: D1000074 00A2E940
	v_cmp_lt_u32_e64 s[40:41], v241, v65                       // 0000000151A8: D0C90028 000283F1
	v_add_u32_e32 v241, 64, v241                               // 0000000151B0: 69E3E2C0
	s_nop 0                                                    // 0000000151B4: BF800000
	v_cndmask_b32_e64 v117, v64, v117, s[40:41]                // 0000000151B8: D1000075 00A2EB40
	v_cmp_lt_u32_e64 s[40:41], v242, v65                       // 0000000151C0: D0C90028 000283F2
	v_add_u32_e32 v242, 64, v242                               // 0000000151C8: 69E5E4C0
	s_nop 0                                                    // 0000000151CC: BF800000
	v_cndmask_b32_e64 v118, v64, v118, s[40:41]                // 0000000151D0: D1000076 00A2ED40
	v_cmp_lt_u32_e64 s[40:41], v243, v65                       // 0000000151D8: D0C90028 000283F3
	v_add_u32_e32 v243, 64, v243                               // 0000000151E0: 69E7E6C0
	s_nop 0                                                    // 0000000151E4: BF800000
	v_cndmask_b32_e64 v119, v64, v119, s[40:41]                // 0000000151E8: D1000077 00A2EF40
	v_cmp_lt_u32_e64 s[40:41], v240, v65                       // 0000000151F0: D0C90028 000283F0
	v_add_u32_e32 v240, 64, v240                               // 0000000151F8: 69E1E0C0
	s_nop 0                                                    // 0000000151FC: BF800000
	v_cndmask_b32_e64 v120, v64, v120, s[40:41]                // 000000015200: D1000078 00A2F140
	v_cmp_lt_u32_e64 s[40:41], v241, v65                       // 000000015208: D0C90028 000283F1
	v_add_u32_e32 v241, 64, v241                               // 000000015210: 69E3E2C0
	s_nop 0                                                    // 000000015214: BF800000
	v_cndmask_b32_e64 v121, v64, v121, s[40:41]                // 000000015218: D1000079 00A2F340
	v_cmp_lt_u32_e64 s[40:41], v242, v65                       // 000000015220: D0C90028 000283F2
	v_add_u32_e32 v242, 64, v242                               // 000000015228: 69E5E4C0
	s_nop 0                                                    // 00000001522C: BF800000
	v_cndmask_b32_e64 v122, v64, v122, s[40:41]                // 000000015230: D100007A 00A2F540
	v_cmp_lt_u32_e64 s[40:41], v243, v65                       // 000000015238: D0C90028 000283F3
	v_add_u32_e32 v243, 64, v243                               // 000000015240: 69E7E6C0
	s_nop 0                                                    // 000000015244: BF800000
	v_cndmask_b32_e64 v123, v64, v123, s[40:41]                // 000000015248: D100007B 00A2F740
	v_cmp_lt_u32_e64 s[40:41], v240, v65                       // 000000015250: D0C90028 000283F0
	v_add_u32_e32 v240, 64, v240                               // 000000015258: 69E1E0C0
	s_nop 0                                                    // 00000001525C: BF800000
	v_cndmask_b32_e64 v124, v64, v124, s[40:41]                // 000000015260: D100007C 00A2F940
	v_cmp_lt_u32_e64 s[40:41], v241, v65                       // 000000015268: D0C90028 000283F1
	v_add_u32_e32 v241, 64, v241                               // 000000015270: 69E3E2C0
	s_nop 0                                                    // 000000015274: BF800000
	v_cndmask_b32_e64 v125, v64, v125, s[40:41]                // 000000015278: D100007D 00A2FB40
	v_cmp_lt_u32_e64 s[40:41], v242, v65                       // 000000015280: D0C90028 000283F2
	v_add_u32_e32 v242, 64, v242                               // 000000015288: 69E5E4C0
	s_nop 0                                                    // 00000001528C: BF800000
	v_cndmask_b32_e64 v126, v64, v126, s[40:41]                // 000000015290: D100007E 00A2FD40
	v_cmp_lt_u32_e64 s[40:41], v243, v65                       // 000000015298: D0C90028 000283F3
	v_add_u32_e32 v243, 64, v243                               // 0000000152A0: 69E7E6C0
	s_nop 0                                                    // 0000000152A4: BF800000
	v_cndmask_b32_e64 v127, v64, v127, s[40:41]                // 0000000152A8: D100007F 00A2FF40
	v_mov_b32_e32 v48, v112                                    // 0000000152B0: 7E600370
	v_max3_f32 v48, v112, v113, v48                            // 0000000152B4: D1D30030 04C2E370
	v_max3_f32 v48, v114, v115, v48                            // 0000000152BC: D1D30030 04C2E772
	v_max3_f32 v48, v116, v117, v48                            // 0000000152C4: D1D30030 04C2EB74
	v_max3_f32 v48, v118, v119, v48                            // 0000000152CC: D1D30030 04C2EF76
	v_max3_f32 v48, v120, v121, v48                            // 0000000152D4: D1D30030 04C2F378
	v_max3_f32 v48, v122, v123, v48                            // 0000000152DC: D1D30030 04C2F77A
	v_max3_f32 v48, v124, v125, v48                            // 0000000152E4: D1D30030 04C2FB7C
	v_max3_f32 v48, v126, v127, v48                            // 0000000152EC: D1D30030 04C2FF7E
	ds_write_b32 v8, v48 offset:16896                          // 0000000152F4: D81A4200 00003008
	v_mul_u32_u24_dpp v64, v17, v54 row_newbcast:1 row_mask:0xf bank_mask:0xf// 0000000152FC: 10806CFA FF015111
	v_mul_u32_u24_dpp v65, v17, v54 row_newbcast:5 row_mask:0xf bank_mask:0xf// 000000015304: 10826CFA FF015511
	v_mul_u32_u24_dpp v66, v17, v54 row_newbcast:9 row_mask:0xf bank_mask:0xf// 00000001530C: 10846CFA FF015911
	v_mul_u32_u24_dpp v67, v17, v54 row_newbcast:13 row_mask:0xf bank_mask:0xf// 000000015314: 10866CFA FF015D11
	v_add_u32_e32 v34, v64, v6                                 // 00000001531C: 68440D40
	v_add_u32_e32 v35, v65, v6                                 // 000000015320: 68460D41
	v_add_u32_e32 v36, v66, v6                                 // 000000015324: 68480D42
	v_add_u32_e32 v37, v67, v6                                 // 000000015328: 684A0D43
	v_mul_f32_e32 v208, v49, v208                              // 00000001532C: 0BA1A131
	v_mul_f32_e32 v209, v49, v209                              // 000000015330: 0BA3A331
	v_mul_f32_e32 v210, v49, v210                              // 000000015334: 0BA5A531
	v_mul_f32_e32 v211, v49, v211                              // 000000015338: 0BA7A731
	v_mul_f32_e32 v212, v49, v212                              // 00000001533C: 0BA9A931
	v_mul_f32_e32 v213, v49, v213                              // 000000015340: 0BABAB31
	v_mul_f32_e32 v214, v49, v214                              // 000000015344: 0BADAD31
	v_mul_f32_e32 v215, v49, v215                              // 000000015348: 0BAFAF31
	s_waitcnt lgkmcnt(0)                                       // 00000001534C: BF8CC07F
	s_barrier                                                  // 000000015350: BF8A0000
	ds_read_b32 v64, v7 offset:16896                           // 000000015354: D86C4200 40000007
	ds_read_b32 v65, v7 offset:16960                           // 00000001535C: D86C4240 41000007
	ds_read_b32 v66, v7 offset:17024                           // 000000015364: D86C4280 42000007
	ds_read_b32 v67, v7 offset:17088                           // 00000001536C: D86C42C0 43000007
	ds_read_b32 v68, v7 offset:17152                           // 000000015374: D86C4300 44000007
	ds_read_b32 v69, v7 offset:17216                           // 00000001537C: D86C4340 45000007
	ds_read_b32 v70, v7 offset:17280                           // 000000015384: D86C4380 46000007
	ds_read_b32 v71, v7 offset:17344                           // 00000001538C: D86C43C0 47000007
	ds_read_b32 v72, v7 offset:17408                           // 000000015394: D86C4400 48000007
	ds_read_b32 v73, v7 offset:17472                           // 00000001539C: D86C4440 49000007
	ds_read_b32 v74, v7 offset:17536                           // 0000000153A4: D86C4480 4A000007
	ds_read_b32 v75, v7 offset:17600                           // 0000000153AC: D86C44C0 4B000007
	ds_read_b32 v76, v7 offset:17664                           // 0000000153B4: D86C4500 4C000007
	ds_read_b32 v77, v7 offset:17728                           // 0000000153BC: D86C4540 4D000007
	ds_read_b32 v78, v7 offset:17792                           // 0000000153C4: D86C4580 4E000007
	ds_read_b32 v79, v7 offset:17856                           // 0000000153CC: D86C45C0 4F000007
	v_mul_f32_e32 v176, v44, v176                              // 0000000153D4: 0B61612C
	v_mul_f32_e32 v177, v44, v177                              // 0000000153D8: 0B63632C
	v_mul_f32_e32 v178, v44, v178                              // 0000000153DC: 0B65652C
	v_mul_f32_e32 v179, v44, v179                              // 0000000153E0: 0B67672C
	v_mul_f32_e32 v180, v44, v180                              // 0000000153E4: 0B69692C
	v_mul_f32_e32 v181, v44, v181                              // 0000000153E8: 0B6B6B2C
	v_mul_f32_e32 v182, v44, v182                              // 0000000153EC: 0B6D6D2C
	v_mul_f32_e32 v183, v44, v183                              // 0000000153F0: 0B6F6F2C
	s_waitcnt lgkmcnt(0)                                       // 0000000153F4: BF8CC07F
	v_max3_f32 v48, v64, v65, v48                              // 0000000153F8: D1D30030 04C28340
	v_max3_f32 v48, v66, v67, v48                              // 000000015400: D1D30030 04C28742
	v_max3_f32 v48, v68, v69, v48                              // 000000015408: D1D30030 04C28B44
	v_max3_f32 v48, v70, v71, v48                              // 000000015410: D1D30030 04C28F46
	v_max3_f32 v48, v72, v73, v48                              // 000000015418: D1D30030 04C29348
	v_max3_f32 v48, v74, v75, v48                              // 000000015420: D1D30030 04C2974A
	v_max3_f32 v48, v76, v77, v48                              // 000000015428: D1D30030 04C29B4C
	v_max3_f32 v48, v78, v79, v48                              // 000000015430: D1D30030 04C29F4E
	v_mov_b32_e32 v64, 0xff800000                              // 000000015438: 7E8002FF FF800000
	v_cmp_eq_u32_e64 s[40:41], v64, v11                        // 000000015440: D0CA0028 00021740
	s_nop 1                                                    // 000000015448: BF800001
	v_max_f32_e32 v15, v48, v11                                // 00000001544C: 161E1730
	v_mul_f32_e32 v53, s64, v15                                // 000000015450: 0A6A1E40
	v_fma_f32 v112, v112, s64, -v53                            // 000000015454: D1CB0070 84D48170
	v_fma_f32 v113, v113, s64, -v53                            // 00000001545C: D1CB0071 84D48171
	v_fma_f32 v114, v114, s64, -v53                            // 000000015464: D1CB0072 84D48172
	v_fma_f32 v115, v115, s64, -v53                            // 00000001546C: D1CB0073 84D48173
	v_fma_f32 v116, v116, s64, -v53                            // 000000015474: D1CB0074 84D48174
	v_fma_f32 v117, v117, s64, -v53                            // 00000001547C: D1CB0075 84D48175
	v_fma_f32 v118, v118, s64, -v53                            // 000000015484: D1CB0076 84D48176
	v_fma_f32 v119, v119, s64, -v53                            // 00000001548C: D1CB0077 84D48177
	v_fma_f32 v120, v120, s64, -v53                            // 000000015494: D1CB0078 84D48178
	v_fma_f32 v121, v121, s64, -v53                            // 00000001549C: D1CB0079 84D48179
	v_fma_f32 v122, v122, s64, -v53                            // 0000000154A4: D1CB007A 84D4817A
	v_fma_f32 v123, v123, s64, -v53                            // 0000000154AC: D1CB007B 84D4817B
	v_fma_f32 v124, v124, s64, -v53                            // 0000000154B4: D1CB007C 84D4817C
	v_fma_f32 v125, v125, s64, -v53                            // 0000000154BC: D1CB007D 84D4817D
	v_fma_f32 v126, v126, s64, -v53                            // 0000000154C4: D1CB007E 84D4817E
	v_fma_f32 v127, v127, s64, -v53                            // 0000000154CC: D1CB007F 84D4817F
	v_exp_f32_e32 v112, v112                                   // 0000000154D4: 7EE04170
	v_exp_f32_e32 v113, v113                                   // 0000000154D8: 7EE24171
	v_exp_f32_e32 v114, v114                                   // 0000000154DC: 7EE44172
	v_exp_f32_e32 v115, v115                                   // 0000000154E0: 7EE64173
	v_exp_f32_e32 v116, v116                                   // 0000000154E4: 7EE84174
	v_exp_f32_e32 v117, v117                                   // 0000000154E8: 7EEA4175
	v_exp_f32_e32 v118, v118                                   // 0000000154EC: 7EEC4176
	v_exp_f32_e32 v119, v119                                   // 0000000154F0: 7EEE4177
	v_exp_f32_e32 v120, v120                                   // 0000000154F4: 7EF04178
	v_exp_f32_e32 v121, v121                                   // 0000000154F8: 7EF24179
	v_exp_f32_e32 v122, v122                                   // 0000000154FC: 7EF4417A
	v_exp_f32_e32 v123, v123                                   // 000000015500: 7EF6417B
	v_exp_f32_e32 v124, v124                                   // 000000015504: 7EF8417C
	v_exp_f32_e32 v125, v125                                   // 000000015508: 7EFA417D
	v_exp_f32_e32 v126, v126                                   // 00000001550C: 7EFC417E
	v_exp_f32_e32 v127, v127                                   // 000000015510: 7EFE417F
	v_mul_f32_dpp v240, v252, v112 quad_perm:[0,0,0,0] row_mask:0xf bank_mask:0xf// 000000015514: 0BE0E0FA FF0000FC
	v_mul_f32_dpp v241, v252, v113 quad_perm:[1,1,1,1] row_mask:0xf bank_mask:0xf// 00000001551C: 0BE2E2FA FF0055FC
	v_mul_f32_dpp v242, v252, v114 quad_perm:[2,2,2,2] row_mask:0xf bank_mask:0xf// 000000015524: 0BE4E4FA FF00AAFC
	v_mul_f32_dpp v243, v252, v115 quad_perm:[3,3,3,3] row_mask:0xf bank_mask:0xf// 00000001552C: 0BE6E6FA FF00FFFC
	v_mul_f32_dpp v244, v253, v116 quad_perm:[0,0,0,0] row_mask:0xf bank_mask:0xf// 000000015534: 0BE8E8FA FF0000FD
	v_mul_f32_dpp v245, v253, v117 quad_perm:[1,1,1,1] row_mask:0xf bank_mask:0xf// 00000001553C: 0BEAEAFA FF0055FD
	v_mul_f32_dpp v246, v253, v118 quad_perm:[2,2,2,2] row_mask:0xf bank_mask:0xf// 000000015544: 0BECECFA FF00AAFD
	v_mul_f32_dpp v247, v253, v119 quad_perm:[3,3,3,3] row_mask:0xf bank_mask:0xf// 00000001554C: 0BEEEEFA FF00FFFD
	v_mul_f32_dpp v248, v254, v120 quad_perm:[0,0,0,0] row_mask:0xf bank_mask:0xf// 000000015554: 0BF0F0FA FF0000FE
	v_mul_f32_dpp v249, v254, v121 quad_perm:[1,1,1,1] row_mask:0xf bank_mask:0xf// 00000001555C: 0BF2F2FA FF0055FE
	v_mul_f32_dpp v250, v254, v122 quad_perm:[2,2,2,2] row_mask:0xf bank_mask:0xf// 000000015564: 0BF4F4FA FF00AAFE
	v_mul_f32_dpp v251, v254, v123 quad_perm:[3,3,3,3] row_mask:0xf bank_mask:0xf// 00000001556C: 0BF6F6FA FF00FFFE
	v_mul_f32_dpp v252, v255, v124 quad_perm:[0,0,0,0] row_mask:0xf bank_mask:0xf// 000000015574: 0BF8F8FA FF0000FF
	v_mul_f32_dpp v253, v255, v125 quad_perm:[1,1,1,1] row_mask:0xf bank_mask:0xf// 00000001557C: 0BFAFAFA FF0055FF
	v_mul_f32_dpp v254, v255, v126 quad_perm:[2,2,2,2] row_mask:0xf bank_mask:0xf// 000000015584: 0BFCFCFA FF00AAFF
	v_mul_f32_dpp v255, v255, v127 quad_perm:[3,3,3,3] row_mask:0xf bank_mask:0xf// 00000001558C: 0BFEFEFA FF00FFFF
	v_mov_b32_e32 v48, 0x358637bd                              // 000000015594: 7E6002FF 358637BD
	v_max3_f32 v48, |v240|, |v241|, v48                        // 00000001559C: D1D30330 04C3E3F0
	v_max3_f32 v48, |v242|, |v243|, v48                        // 0000000155A4: D1D30330 04C3E7F2
	v_max3_f32 v48, |v244|, |v245|, v48                        // 0000000155AC: D1D30330 04C3EBF4
	v_max3_f32 v48, |v246|, |v247|, v48                        // 0000000155B4: D1D30330 04C3EFF6
	v_max3_f32 v48, |v248|, |v249|, v48                        // 0000000155BC: D1D30330 04C3F3F8
	v_max3_f32 v48, |v250|, |v251|, v48                        // 0000000155C4: D1D30330 04C3F7FA
	v_max3_f32 v48, |v252|, |v253|, v48                        // 0000000155CC: D1D30330 04C3FBFC
	v_max3_f32 v48, |v254|, |v255|, v48                        // 0000000155D4: D1D30330 04C3FFFE
	ds_write_b32 v8, v48 offset:20992                          // 0000000155DC: D81A5200 00003008
	v_sub_f32_e32 v49, v11, v15                                // 0000000155E4: 04621F0B
	v_cndmask_b32_e64 v49, v49, 0, s[40:41]                    // 0000000155E8: D1000031 00A10131
	v_mov_b32_e32 v11, v15                                     // 0000000155F0: 7E16030F
	v_mul_f32_e32 v49, s64, v49                                // 0000000155F4: 0A626240
	v_exp_f32_e32 v49, v49                                     // 0000000155F8: 7E624131
	s_waitcnt lgkmcnt(0)                                       // 0000000155FC: BF8CC07F
	s_barrier                                                  // 000000015600: BF8A0000
	ds_read_b32 v64, v7 offset:20992                           // 000000015604: D86C5200 40000007
	ds_read_b32 v65, v7 offset:21056                           // 00000001560C: D86C5240 41000007
	ds_read_b32 v66, v7 offset:21120                           // 000000015614: D86C5280 42000007
	ds_read_b32 v67, v7 offset:21184                           // 00000001561C: D86C52C0 43000007
	ds_read_b32 v68, v7 offset:21248                           // 000000015624: D86C5300 44000007
	ds_read_b32 v69, v7 offset:21312                           // 00000001562C: D86C5340 45000007
	ds_read_b32 v70, v7 offset:21376                           // 000000015634: D86C5380 46000007
	ds_read_b32 v71, v7 offset:21440                           // 00000001563C: D86C53C0 47000007
	ds_read_b32 v72, v7 offset:21504                           // 000000015644: D86C5400 48000007
	ds_read_b32 v73, v7 offset:21568                           // 00000001564C: D86C5440 49000007
	ds_read_b32 v74, v7 offset:21632                           // 000000015654: D86C5480 4A000007
	ds_read_b32 v75, v7 offset:21696                           // 00000001565C: D86C54C0 4B000007
	ds_read_b32 v76, v7 offset:21760                           // 000000015664: D86C5500 4C000007
	ds_read_b32 v77, v7 offset:21824                           // 00000001566C: D86C5540 4D000007
	ds_read_b32 v78, v7 offset:21888                           // 000000015674: D86C5580 4E000007
	ds_read_b32 v79, v7 offset:21952                           // 00000001567C: D86C55C0 4F000007
	v_mul_f32_e32 v38, v49, v38                                // 000000015684: 0A4C4D31
	v_mov_b32_e32 v15, v112                                    // 000000015688: 7E1E0370
	v_add_f32_e32 v15, v113, v15                               // 00000001568C: 021E1F71
	v_add_f32_e32 v15, v114, v15                               // 000000015690: 021E1F72
	v_add_f32_e32 v15, v115, v15                               // 000000015694: 021E1F73
	v_add_f32_e32 v15, v116, v15                               // 000000015698: 021E1F74
	v_add_f32_e32 v15, v117, v15                               // 00000001569C: 021E1F75
	v_add_f32_e32 v15, v118, v15                               // 0000000156A0: 021E1F76
	v_add_f32_e32 v15, v119, v15                               // 0000000156A4: 021E1F77
	v_add_f32_e32 v15, v120, v15                               // 0000000156A8: 021E1F78
	v_add_f32_e32 v15, v121, v15                               // 0000000156AC: 021E1F79
	v_add_f32_e32 v15, v122, v15                               // 0000000156B0: 021E1F7A
	v_add_f32_e32 v15, v123, v15                               // 0000000156B4: 021E1F7B
	v_add_f32_e32 v15, v124, v15                               // 0000000156B8: 021E1F7C
	v_add_f32_e32 v15, v125, v15                               // 0000000156BC: 021E1F7D
	v_add_f32_e32 v15, v126, v15                               // 0000000156C0: 021E1F7E
	v_add_f32_e32 v15, v127, v15                               // 0000000156C4: 021E1F7F
	v_add_f32_e32 v38, v15, v38                                // 0000000156C8: 024C4D0F
	s_waitcnt lgkmcnt(0)                                       // 0000000156CC: BF8CC07F
	v_max3_f32 v48, |v64|, |v65|, v48                          // 0000000156D0: D1D30330 04C28340
	v_max3_f32 v48, |v66|, |v67|, v48                          // 0000000156D8: D1D30330 04C28742
	v_max3_f32 v48, |v68|, |v69|, v48                          // 0000000156E0: D1D30330 04C28B44
	v_max3_f32 v48, |v70|, |v71|, v48                          // 0000000156E8: D1D30330 04C28F46
	v_max3_f32 v48, |v72|, |v73|, v48                          // 0000000156F0: D1D30330 04C29348
	v_max3_f32 v48, |v74|, |v75|, v48                          // 0000000156F8: D1D30330 04C2974A
	v_max3_f32 v48, |v76|, |v77|, v48                          // 000000015700: D1D30330 04C29B4C
	v_max3_f32 v48, |v78|, |v79|, v48                          // 000000015708: D1D30330 04C29F4E
	s_nop 2                                                    // 000000015710: BF800002
	v_rcp_f32_e32 v48, v48                                     // 000000015714: 7E604530
	s_nop 1                                                    // 000000015718: BF800001
	v_mul_f32_e32 v48, 0x43e00000, v48                         // 00000001571C: 0A6060FF 43E00000
	v_mul_f32_e32 v112, v48, v240                              // 000000015724: 0AE1E130
	v_mul_f32_e32 v113, v48, v241                              // 000000015728: 0AE3E330
	v_mul_f32_e32 v114, v48, v242                              // 00000001572C: 0AE5E530
	v_mul_f32_e32 v115, v48, v243                              // 000000015730: 0AE7E730
	v_mul_f32_e32 v116, v48, v244                              // 000000015734: 0AE9E930
	v_mul_f32_e32 v117, v48, v245                              // 000000015738: 0AEBEB30
	v_mul_f32_e32 v118, v48, v246                              // 00000001573C: 0AEDED30
	v_mul_f32_e32 v119, v48, v247                              // 000000015740: 0AEFEF30
	v_mul_f32_e32 v120, v48, v248                              // 000000015744: 0AF1F130
	v_mul_f32_e32 v121, v48, v249                              // 000000015748: 0AF3F330
	v_mul_f32_e32 v122, v48, v250                              // 00000001574C: 0AF5F530
	v_mul_f32_e32 v123, v48, v251                              // 000000015750: 0AF7F730
	v_mul_f32_e32 v124, v48, v252                              // 000000015754: 0AF9F930
	v_mul_f32_e32 v125, v48, v253                              // 000000015758: 0AFBFB30
	v_mul_f32_e32 v126, v48, v254                              // 00000001575C: 0AFDFD30
	v_mul_f32_e32 v127, v48, v255                              // 000000015760: 0AFFFF30
	v_cvt_pk_fp8_f32 v112, v112, v113                          // 000000015764: D2A20070 0002E370
	v_cvt_pk_fp8_f32 v112, v114, v115 op_sel:[0,0,1]           // 00000001576C: D2A24070 0002E772
	v_cvt_pk_fp8_f32 v113, v116, v117                          // 000000015774: D2A20071 0002EB74
	v_cvt_pk_fp8_f32 v113, v118, v119 op_sel:[0,0,1]           // 00000001577C: D2A24071 0002EF76
	v_cvt_pk_fp8_f32 v114, v120, v121                          // 000000015784: D2A20072 0002F378
	v_cvt_pk_fp8_f32 v114, v122, v123 op_sel:[0,0,1]           // 00000001578C: D2A24072 0002F77A
	v_cvt_pk_fp8_f32 v115, v124, v125                          // 000000015794: D2A20073 0002FB7C
	v_cvt_pk_fp8_f32 v115, v126, v127 op_sel:[0,0,1]           // 00000001579C: D2A24073 0002FF7E
	ds_write_b32 v10, v112 offset:25088                        // 0000000157A4: D81A6200 0000700A
	ds_write_b32 v10, v113 offset:26112                        // 0000000157AC: D81A6600 0000710A
	ds_write_b32 v10, v114 offset:27136                        // 0000000157B4: D81A6A00 0000720A
	ds_write_b32 v10, v115 offset:28160                        // 0000000157BC: D81A6E00 0000730A
	v_add_f32_e32 v208, v208, v176                             // 0000000157C4: 03A161D0
	v_add_f32_e32 v209, v209, v177                             // 0000000157C8: 03A363D1
	v_add_f32_e32 v210, v210, v178                             // 0000000157CC: 03A565D2
	v_add_f32_e32 v211, v211, v179                             // 0000000157D0: 03A767D3
	v_add_f32_e32 v212, v212, v180                             // 0000000157D4: 03A969D4
	v_add_f32_e32 v213, v213, v181                             // 0000000157D8: 03AB6BD5
	v_add_f32_e32 v214, v214, v182                             // 0000000157DC: 03AD6DD6
	v_add_f32_e32 v215, v215, v183                             // 0000000157E0: 03AF6FD7
	v_rcp_f32_e32 v44, v48                                     // 0000000157E4: 7E584530
	s_waitcnt lgkmcnt(0)                                       // 0000000157E8: BF8CC07F
	s_barrier                                                  // 0000000157EC: BF8A0000
	ds_read_b64 v[112:113], v9 offset:25088                    // 0000000157F0: D8EC6200 70000009
	ds_read_b64 v[114:115], v9 offset:25216                    // 0000000157F8: D8EC6280 72000009
	ds_read_b64 v[116:117], v9 offset:26112                    // 000000015800: D8EC6600 74000009
	ds_read_b64 v[118:119], v9 offset:26240                    // 000000015808: D8EC6680 76000009
	ds_read_b64 v[120:121], v9 offset:27136                    // 000000015810: D8EC6A00 78000009
	ds_read_b64 v[122:123], v9 offset:27264                    // 000000015818: D8EC6A80 7A000009
	ds_read_b64 v[124:125], v9 offset:28160                    // 000000015820: D8EC6E00 7C000009
	ds_read_b64 v[126:127], v9 offset:28288                    // 000000015828: D8EC6E80 7E000009
	v_mov_b32_dpp v64, v42 row_shr:4 row_mask:0xf bank_mask:0xf// 000000015830: 7E8002FA FF01142A
	v_mov_b32_dpp v65, v42 row_shl:4 row_mask:0xf bank_mask:0xf// 000000015838: 7E8202FA FF01042A
	v_cndmask_b32_e64 v248, v42, v64, s[44:45]                 // 000000015840: D10000F8 00B2812A
	v_cndmask_b32_e64 v249, v65, v42, s[44:45]                 // 000000015848: D10000F9 00B25541
	v_mov_b32_dpp v64, v248 row_shr:8 row_mask:0xf bank_mask:0xf// 000000015850: 7E8002FA FF0118F8
	v_mov_b32_dpp v65, v248 row_shl:8 row_mask:0xf bank_mask:0xf// 000000015858: 7E8202FA FF0108F8
	v_mov_b32_dpp v66, v249 row_shr:8 row_mask:0xf bank_mask:0xf// 000000015860: 7E8402FA FF0118F9
	v_mov_b32_dpp v67, v249 row_shl:8 row_mask:0xf bank_mask:0xf// 000000015868: 7E8602FA FF0108F9
	v_mov_b32_e32 v68, v248                                    // 000000015870: 7E8803F8
	v_mov_b32_e32 v69, v249                                    // 000000015874: 7E8A03F9
	v_cndmask_b32_e64 v248, v68, v64, s[42:43]                 // 000000015878: D10000F8 00AA8144
	v_cndmask_b32_e64 v250, v68, v65, s[78:79]                 // 000000015880: D10000FA 013A8344
	v_cndmask_b32_e64 v249, v69, v66, s[42:43]                 // 000000015888: D10000F9 00AA8545
	v_cndmask_b32_e64 v251, v69, v67, s[78:79]                 // 000000015890: D10000FB 013A8745
	v_mov_b32_dpp v64, v57 row_shr:4 row_mask:0xf bank_mask:0xf// 000000015898: 7E8002FA FF011439
	v_mov_b32_dpp v65, v57 row_shl:4 row_mask:0xf bank_mask:0xf// 0000000158A0: 7E8202FA FF010439
	v_cndmask_b32_e64 v252, v57, v64, s[44:45]                 // 0000000158A8: D10000FC 00B28139
	v_cndmask_b32_e64 v253, v65, v57, s[44:45]                 // 0000000158B0: D10000FD 00B27341
	v_mov_b32_dpp v64, v252 row_shr:8 row_mask:0xf bank_mask:0xf// 0000000158B8: 7E8002FA FF0118FC
	v_mov_b32_dpp v65, v252 row_shl:8 row_mask:0xf bank_mask:0xf// 0000000158C0: 7E8202FA FF0108FC
	v_mov_b32_dpp v66, v253 row_shr:8 row_mask:0xf bank_mask:0xf// 0000000158C8: 7E8402FA FF0118FD
	v_mov_b32_dpp v67, v253 row_shl:8 row_mask:0xf bank_mask:0xf// 0000000158D0: 7E8602FA FF0108FD
	v_mov_b32_e32 v68, v252                                    // 0000000158D8: 7E8803FC
	v_mov_b32_e32 v69, v253                                    // 0000000158DC: 7E8A03FD
	v_cndmask_b32_e64 v252, v68, v64, s[42:43]                 // 0000000158E0: D10000FC 00AA8144
	v_cndmask_b32_e64 v254, v68, v65, s[78:79]                 // 0000000158E8: D10000FE 013A8344
	v_cndmask_b32_e64 v253, v69, v66, s[42:43]                 // 0000000158F0: D10000FD 00AA8545
	v_cndmask_b32_e64 v255, v69, v67, s[78:79]                 // 0000000158F8: D10000FF 013A8745
	v_mul_f32_e32 v128, v19, v128                              // 000000015900: 0B010113
	v_mul_f32_e32 v129, v19, v129                              // 000000015904: 0B030313
	v_mul_f32_e32 v130, v19, v130                              // 000000015908: 0B050513
	v_mul_f32_e32 v131, v19, v131                              // 00000001590C: 0B070713
	v_mul_f32_e32 v132, v19, v132                              // 000000015910: 0B090913
	v_mul_f32_e32 v133, v19, v133                              // 000000015914: 0B0B0B13
	v_mul_f32_e32 v134, v19, v134                              // 000000015918: 0B0D0D13
	v_mul_f32_e32 v135, v19, v135                              // 00000001591C: 0B0F0F13
	v_mul_f32_e32 v136, v19, v136                              // 000000015920: 0B111113
	v_mul_f32_e32 v137, v19, v137                              // 000000015924: 0B131313
	v_mul_f32_e32 v138, v19, v138                              // 000000015928: 0B151513
	v_mul_f32_e32 v139, v19, v139                              // 00000001592C: 0B171713
	v_mul_f32_e32 v140, v19, v140                              // 000000015930: 0B191913
	v_mul_f32_e32 v141, v19, v141                              // 000000015934: 0B1B1B13
	v_mul_f32_e32 v142, v19, v142                              // 000000015938: 0B1D1D13
	v_mul_f32_e32 v143, v19, v143                              // 00000001593C: 0B1F1F13
	v_mul_f32_dpp v128, v248, v128 quad_perm:[0,0,0,0] row_mask:0xf bank_mask:0xf// 000000015940: 0B0100FA FF0000F8
	v_mul_f32_dpp v129, v248, v129 quad_perm:[1,1,1,1] row_mask:0xf bank_mask:0xf// 000000015948: 0B0302FA FF0055F8
	v_mul_f32_dpp v130, v248, v130 quad_perm:[2,2,2,2] row_mask:0xf bank_mask:0xf// 000000015950: 0B0504FA FF00AAF8
	v_mul_f32_dpp v131, v248, v131 quad_perm:[3,3,3,3] row_mask:0xf bank_mask:0xf// 000000015958: 0B0706FA FF00FFF8
	v_mul_f32_dpp v132, v249, v132 quad_perm:[0,0,0,0] row_mask:0xf bank_mask:0xf// 000000015960: 0B0908FA FF0000F9
	v_mul_f32_dpp v133, v249, v133 quad_perm:[1,1,1,1] row_mask:0xf bank_mask:0xf// 000000015968: 0B0B0AFA FF0055F9
	v_mul_f32_dpp v134, v249, v134 quad_perm:[2,2,2,2] row_mask:0xf bank_mask:0xf// 000000015970: 0B0D0CFA FF00AAF9
	v_mul_f32_dpp v135, v249, v135 quad_perm:[3,3,3,3] row_mask:0xf bank_mask:0xf// 000000015978: 0B0F0EFA FF00FFF9
	v_mul_f32_dpp v136, v250, v136 quad_perm:[0,0,0,0] row_mask:0xf bank_mask:0xf// 000000015980: 0B1110FA FF0000FA
	v_mul_f32_dpp v137, v250, v137 quad_perm:[1,1,1,1] row_mask:0xf bank_mask:0xf// 000000015988: 0B1312FA FF0055FA
	v_mul_f32_dpp v138, v250, v138 quad_perm:[2,2,2,2] row_mask:0xf bank_mask:0xf// 000000015990: 0B1514FA FF00AAFA
	v_mul_f32_dpp v139, v250, v139 quad_perm:[3,3,3,3] row_mask:0xf bank_mask:0xf// 000000015998: 0B1716FA FF00FFFA
	v_mul_f32_dpp v140, v251, v140 quad_perm:[0,0,0,0] row_mask:0xf bank_mask:0xf// 0000000159A0: 0B1918FA FF0000FB
	v_mul_f32_dpp v141, v251, v141 quad_perm:[1,1,1,1] row_mask:0xf bank_mask:0xf// 0000000159A8: 0B1B1AFA FF0055FB
	v_mul_f32_dpp v142, v251, v142 quad_perm:[2,2,2,2] row_mask:0xf bank_mask:0xf// 0000000159B0: 0B1D1CFA FF00AAFB
	v_mul_f32_dpp v143, v251, v143 quad_perm:[3,3,3,3] row_mask:0xf bank_mask:0xf// 0000000159B8: 0B1F1EFA FF00FFFB
	s_and_b32 s60, s72, 0xff                                   // 0000000159C0: 863CFF48 000000FF
	v_mov_b32_e32 v65, s60                                     // 0000000159C8: 7E82023C
	v_lshrrev_b32_e32 v240, 4, v0                              // 0000000159CC: 21E00084
	v_mul_i32_i24_e32 v240, 4, v240                            // 0000000159D0: 0DE1E084
	s_mul_i32 s60, s7, 16                                      // 0000000159D4: 923C9007
	v_add_u32_e32 v240, s60, v240                              // 0000000159D8: 69E1E03C
	v_add_u32_e32 v241, 1, v240                                // 0000000159DC: 69E3E081
	v_add_u32_e32 v242, 2, v240                                // 0000000159E0: 69E5E082
	v_add_u32_e32 v243, 3, v240                                // 0000000159E4: 69E7E083
	v_mov_b32_e32 v64, 0xff800000                              // 0000000159E8: 7E8002FF FF800000
	v_cmp_lt_u32_e64 s[40:41], v240, v65                       // 0000000159F0: D0C90028 000283F0
	v_add_u32_e32 v240, 64, v240                               // 0000000159F8: 69E1E0C0
	s_nop 0                                                    // 0000000159FC: BF800000
	v_cndmask_b32_e64 v128, v64, v128, s[40:41]                // 000000015A00: D1000080 00A30140
	v_cmp_lt_u32_e64 s[40:41], v241, v65                       // 000000015A08: D0C90028 000283F1
	v_add_u32_e32 v241, 64, v241                               // 000000015A10: 69E3E2C0
	s_nop 0                                                    // 000000015A14: BF800000
	v_cndmask_b32_e64 v129, v64, v129, s[40:41]                // 000000015A18: D1000081 00A30340
	v_cmp_lt_u32_e64 s[40:41], v242, v65                       // 000000015A20: D0C90028 000283F2
	v_add_u32_e32 v242, 64, v242                               // 000000015A28: 69E5E4C0
	s_nop 0                                                    // 000000015A2C: BF800000
	v_cndmask_b32_e64 v130, v64, v130, s[40:41]                // 000000015A30: D1000082 00A30540
	v_cmp_lt_u32_e64 s[40:41], v243, v65                       // 000000015A38: D0C90028 000283F3
	v_add_u32_e32 v243, 64, v243                               // 000000015A40: 69E7E6C0
	s_nop 0                                                    // 000000015A44: BF800000
	v_cndmask_b32_e64 v131, v64, v131, s[40:41]                // 000000015A48: D1000083 00A30740
	v_cmp_lt_u32_e64 s[40:41], v240, v65                       // 000000015A50: D0C90028 000283F0
	v_add_u32_e32 v240, 64, v240                               // 000000015A58: 69E1E0C0
	s_nop 0                                                    // 000000015A5C: BF800000
	v_cndmask_b32_e64 v132, v64, v132, s[40:41]                // 000000015A60: D1000084 00A30940
	v_cmp_lt_u32_e64 s[40:41], v241, v65                       // 000000015A68: D0C90028 000283F1
	v_add_u32_e32 v241, 64, v241                               // 000000015A70: 69E3E2C0
	s_nop 0                                                    // 000000015A74: BF800000
	v_cndmask_b32_e64 v133, v64, v133, s[40:41]                // 000000015A78: D1000085 00A30B40
	v_cmp_lt_u32_e64 s[40:41], v242, v65                       // 000000015A80: D0C90028 000283F2
	v_add_u32_e32 v242, 64, v242                               // 000000015A88: 69E5E4C0
	s_nop 0                                                    // 000000015A8C: BF800000
	v_cndmask_b32_e64 v134, v64, v134, s[40:41]                // 000000015A90: D1000086 00A30D40
	v_cmp_lt_u32_e64 s[40:41], v243, v65                       // 000000015A98: D0C90028 000283F3
	v_add_u32_e32 v243, 64, v243                               // 000000015AA0: 69E7E6C0
	s_nop 0                                                    // 000000015AA4: BF800000
	v_cndmask_b32_e64 v135, v64, v135, s[40:41]                // 000000015AA8: D1000087 00A30F40
	v_cmp_lt_u32_e64 s[40:41], v240, v65                       // 000000015AB0: D0C90028 000283F0
	v_add_u32_e32 v240, 64, v240                               // 000000015AB8: 69E1E0C0
	s_nop 0                                                    // 000000015ABC: BF800000
	v_cndmask_b32_e64 v136, v64, v136, s[40:41]                // 000000015AC0: D1000088 00A31140
	v_cmp_lt_u32_e64 s[40:41], v241, v65                       // 000000015AC8: D0C90028 000283F1
	v_add_u32_e32 v241, 64, v241                               // 000000015AD0: 69E3E2C0
	s_nop 0                                                    // 000000015AD4: BF800000
	v_cndmask_b32_e64 v137, v64, v137, s[40:41]                // 000000015AD8: D1000089 00A31340
	v_cmp_lt_u32_e64 s[40:41], v242, v65                       // 000000015AE0: D0C90028 000283F2
	v_add_u32_e32 v242, 64, v242                               // 000000015AE8: 69E5E4C0
	s_nop 0                                                    // 000000015AEC: BF800000
	v_cndmask_b32_e64 v138, v64, v138, s[40:41]                // 000000015AF0: D100008A 00A31540
	v_cmp_lt_u32_e64 s[40:41], v243, v65                       // 000000015AF8: D0C90028 000283F3
	v_add_u32_e32 v243, 64, v243                               // 000000015B00: 69E7E6C0
	s_nop 0                                                    // 000000015B04: BF800000
	v_cndmask_b32_e64 v139, v64, v139, s[40:41]                // 000000015B08: D100008B 00A31740
	v_cmp_lt_u32_e64 s[40:41], v240, v65                       // 000000015B10: D0C90028 000283F0
	v_add_u32_e32 v240, 64, v240                               // 000000015B18: 69E1E0C0
	s_nop 0                                                    // 000000015B1C: BF800000
	v_cndmask_b32_e64 v140, v64, v140, s[40:41]                // 000000015B20: D100008C 00A31940
	v_cmp_lt_u32_e64 s[40:41], v241, v65                       // 000000015B28: D0C90028 000283F1
	v_add_u32_e32 v241, 64, v241                               // 000000015B30: 69E3E2C0
	s_nop 0                                                    // 000000015B34: BF800000
	v_cndmask_b32_e64 v141, v64, v141, s[40:41]                // 000000015B38: D100008D 00A31B40
	v_cmp_lt_u32_e64 s[40:41], v242, v65                       // 000000015B40: D0C90028 000283F2
	v_add_u32_e32 v242, 64, v242                               // 000000015B48: 69E5E4C0
	s_nop 0                                                    // 000000015B4C: BF800000
	v_cndmask_b32_e64 v142, v64, v142, s[40:41]                // 000000015B50: D100008E 00A31D40
	v_cmp_lt_u32_e64 s[40:41], v243, v65                       // 000000015B58: D0C90028 000283F3
	v_add_u32_e32 v243, 64, v243                               // 000000015B60: 69E7E6C0
	s_nop 0                                                    // 000000015B64: BF800000
	v_cndmask_b32_e64 v143, v64, v143, s[40:41]                // 000000015B68: D100008F 00A31F40
	v_mov_b32_e32 v48, v128                                    // 000000015B70: 7E600380
	v_max3_f32 v48, v128, v129, v48                            // 000000015B74: D1D30030 04C30380
	v_max3_f32 v48, v130, v131, v48                            // 000000015B7C: D1D30030 04C30782
	v_max3_f32 v48, v132, v133, v48                            // 000000015B84: D1D30030 04C30B84
	v_max3_f32 v48, v134, v135, v48                            // 000000015B8C: D1D30030 04C30F86
	v_max3_f32 v48, v136, v137, v48                            // 000000015B94: D1D30030 04C31388
	v_max3_f32 v48, v138, v139, v48                            // 000000015B9C: D1D30030 04C3178A
	v_max3_f32 v48, v140, v141, v48                            // 000000015BA4: D1D30030 04C31B8C
	v_max3_f32 v48, v142, v143, v48                            // 000000015BAC: D1D30030 04C31F8E
	ds_write_b32 v8, v48 offset:16896                          // 000000015BB4: D81A4200 00003008
	v_mul_f32_e32 v216, v50, v216                              // 000000015BBC: 0BB1B132
	v_mul_f32_e32 v217, v50, v217                              // 000000015BC0: 0BB3B332
	v_mul_f32_e32 v218, v50, v218                              // 000000015BC4: 0BB5B532
	v_mul_f32_e32 v219, v50, v219                              // 000000015BC8: 0BB7B732
	v_mul_f32_e32 v220, v50, v220                              // 000000015BCC: 0BB9B932
	v_mul_f32_e32 v221, v50, v221                              // 000000015BD0: 0BBBBB32
	v_mul_f32_e32 v222, v50, v222                              // 000000015BD4: 0BBDBD32
	v_mul_f32_e32 v223, v50, v223                              // 000000015BD8: 0BBFBF32
	s_waitcnt lgkmcnt(0)                                       // 000000015BDC: BF8CC07F
	s_barrier                                                  // 000000015BE0: BF8A0000
	ds_read_b32 v64, v7 offset:16896                           // 000000015BE4: D86C4200 40000007
	ds_read_b32 v65, v7 offset:16960                           // 000000015BEC: D86C4240 41000007
	ds_read_b32 v66, v7 offset:17024                           // 000000015BF4: D86C4280 42000007
	ds_read_b32 v67, v7 offset:17088                           // 000000015BFC: D86C42C0 43000007
	ds_read_b32 v68, v7 offset:17152                           // 000000015C04: D86C4300 44000007
	ds_read_b32 v69, v7 offset:17216                           // 000000015C0C: D86C4340 45000007
	ds_read_b32 v70, v7 offset:17280                           // 000000015C14: D86C4380 46000007
	ds_read_b32 v71, v7 offset:17344                           // 000000015C1C: D86C43C0 47000007
	ds_read_b32 v72, v7 offset:17408                           // 000000015C24: D86C4400 48000007
	ds_read_b32 v73, v7 offset:17472                           // 000000015C2C: D86C4440 49000007
	ds_read_b32 v74, v7 offset:17536                           // 000000015C34: D86C4480 4A000007
	ds_read_b32 v75, v7 offset:17600                           // 000000015C3C: D86C44C0 4B000007
	ds_read_b32 v76, v7 offset:17664                           // 000000015C44: D86C4500 4C000007
	ds_read_b32 v77, v7 offset:17728                           // 000000015C4C: D86C4540 4D000007
	ds_read_b32 v78, v7 offset:17792                           // 000000015C54: D86C4580 4E000007
	ds_read_b32 v79, v7 offset:17856                           // 000000015C5C: D86C45C0 4F000007
	v_mul_f32_e32 v184, v45, v184                              // 000000015C64: 0B71712D
	v_mul_f32_e32 v185, v45, v185                              // 000000015C68: 0B73732D
	v_mul_f32_e32 v186, v45, v186                              // 000000015C6C: 0B75752D
	v_mul_f32_e32 v187, v45, v187                              // 000000015C70: 0B77772D
	v_mul_f32_e32 v188, v45, v188                              // 000000015C74: 0B79792D
	v_mul_f32_e32 v189, v45, v189                              // 000000015C78: 0B7B7B2D
	v_mul_f32_e32 v190, v45, v190                              // 000000015C7C: 0B7D7D2D
	v_mul_f32_e32 v191, v45, v191                              // 000000015C80: 0B7F7F2D
	s_waitcnt lgkmcnt(0)                                       // 000000015C84: BF8CC07F
	v_max3_f32 v48, v64, v65, v48                              // 000000015C88: D1D30030 04C28340
	v_max3_f32 v48, v66, v67, v48                              // 000000015C90: D1D30030 04C28742
	v_max3_f32 v48, v68, v69, v48                              // 000000015C98: D1D30030 04C28B44
	v_max3_f32 v48, v70, v71, v48                              // 000000015CA0: D1D30030 04C28F46
	v_max3_f32 v48, v72, v73, v48                              // 000000015CA8: D1D30030 04C29348
	v_max3_f32 v48, v74, v75, v48                              // 000000015CB0: D1D30030 04C2974A
	v_max3_f32 v48, v76, v77, v48                              // 000000015CB8: D1D30030 04C29B4C
	v_max3_f32 v48, v78, v79, v48                              // 000000015CC0: D1D30030 04C29F4E
	v_mov_b32_e32 v64, 0xff800000                              // 000000015CC8: 7E8002FF FF800000
	v_cmp_eq_u32_e64 s[40:41], v64, v12                        // 000000015CD0: D0CA0028 00021940
	s_nop 1                                                    // 000000015CD8: BF800001
	v_max_f32_e32 v15, v48, v12                                // 000000015CDC: 161E1930
	v_mul_f32_e32 v53, s64, v15                                // 000000015CE0: 0A6A1E40
	v_fma_f32 v128, v128, s64, -v53                            // 000000015CE4: D1CB0080 84D48180
	v_fma_f32 v129, v129, s64, -v53                            // 000000015CEC: D1CB0081 84D48181
	v_fma_f32 v130, v130, s64, -v53                            // 000000015CF4: D1CB0082 84D48182
	v_fma_f32 v131, v131, s64, -v53                            // 000000015CFC: D1CB0083 84D48183
	v_fma_f32 v132, v132, s64, -v53                            // 000000015D04: D1CB0084 84D48184
	v_fma_f32 v133, v133, s64, -v53                            // 000000015D0C: D1CB0085 84D48185
	v_fma_f32 v134, v134, s64, -v53                            // 000000015D14: D1CB0086 84D48186
	v_fma_f32 v135, v135, s64, -v53                            // 000000015D1C: D1CB0087 84D48187
	v_fma_f32 v136, v136, s64, -v53                            // 000000015D24: D1CB0088 84D48188
	v_fma_f32 v137, v137, s64, -v53                            // 000000015D2C: D1CB0089 84D48189
	v_fma_f32 v138, v138, s64, -v53                            // 000000015D34: D1CB008A 84D4818A
	v_fma_f32 v139, v139, s64, -v53                            // 000000015D3C: D1CB008B 84D4818B
	v_fma_f32 v140, v140, s64, -v53                            // 000000015D44: D1CB008C 84D4818C
	v_fma_f32 v141, v141, s64, -v53                            // 000000015D4C: D1CB008D 84D4818D
	v_fma_f32 v142, v142, s64, -v53                            // 000000015D54: D1CB008E 84D4818E
	v_fma_f32 v143, v143, s64, -v53                            // 000000015D5C: D1CB008F 84D4818F
	v_exp_f32_e32 v128, v128                                   // 000000015D64: 7F004180
	v_exp_f32_e32 v129, v129                                   // 000000015D68: 7F024181
	v_exp_f32_e32 v130, v130                                   // 000000015D6C: 7F044182
	v_exp_f32_e32 v131, v131                                   // 000000015D70: 7F064183
	v_exp_f32_e32 v132, v132                                   // 000000015D74: 7F084184
	v_exp_f32_e32 v133, v133                                   // 000000015D78: 7F0A4185
	v_exp_f32_e32 v134, v134                                   // 000000015D7C: 7F0C4186
	v_exp_f32_e32 v135, v135                                   // 000000015D80: 7F0E4187
	v_exp_f32_e32 v136, v136                                   // 000000015D84: 7F104188
	v_exp_f32_e32 v137, v137                                   // 000000015D88: 7F124189
	v_exp_f32_e32 v138, v138                                   // 000000015D8C: 7F14418A
	v_exp_f32_e32 v139, v139                                   // 000000015D90: 7F16418B
	v_exp_f32_e32 v140, v140                                   // 000000015D94: 7F18418C
	v_exp_f32_e32 v141, v141                                   // 000000015D98: 7F1A418D
	v_exp_f32_e32 v142, v142                                   // 000000015D9C: 7F1C418E
	v_exp_f32_e32 v143, v143                                   // 000000015DA0: 7F1E418F
	v_mul_f32_dpp v240, v252, v128 quad_perm:[0,0,0,0] row_mask:0xf bank_mask:0xf// 000000015DA4: 0BE100FA FF0000FC
	v_mul_f32_dpp v241, v252, v129 quad_perm:[1,1,1,1] row_mask:0xf bank_mask:0xf// 000000015DAC: 0BE302FA FF0055FC
	v_mul_f32_dpp v242, v252, v130 quad_perm:[2,2,2,2] row_mask:0xf bank_mask:0xf// 000000015DB4: 0BE504FA FF00AAFC
	v_mul_f32_dpp v243, v252, v131 quad_perm:[3,3,3,3] row_mask:0xf bank_mask:0xf// 000000015DBC: 0BE706FA FF00FFFC
	v_mul_f32_dpp v244, v253, v132 quad_perm:[0,0,0,0] row_mask:0xf bank_mask:0xf// 000000015DC4: 0BE908FA FF0000FD
	v_mul_f32_dpp v245, v253, v133 quad_perm:[1,1,1,1] row_mask:0xf bank_mask:0xf// 000000015DCC: 0BEB0AFA FF0055FD
	v_mul_f32_dpp v246, v253, v134 quad_perm:[2,2,2,2] row_mask:0xf bank_mask:0xf// 000000015DD4: 0BED0CFA FF00AAFD
	v_mul_f32_dpp v247, v253, v135 quad_perm:[3,3,3,3] row_mask:0xf bank_mask:0xf// 000000015DDC: 0BEF0EFA FF00FFFD
	v_mul_f32_dpp v248, v254, v136 quad_perm:[0,0,0,0] row_mask:0xf bank_mask:0xf// 000000015DE4: 0BF110FA FF0000FE
	v_mul_f32_dpp v249, v254, v137 quad_perm:[1,1,1,1] row_mask:0xf bank_mask:0xf// 000000015DEC: 0BF312FA FF0055FE
	v_mul_f32_dpp v250, v254, v138 quad_perm:[2,2,2,2] row_mask:0xf bank_mask:0xf// 000000015DF4: 0BF514FA FF00AAFE
	v_mul_f32_dpp v251, v254, v139 quad_perm:[3,3,3,3] row_mask:0xf bank_mask:0xf// 000000015DFC: 0BF716FA FF00FFFE
	v_mul_f32_dpp v252, v255, v140 quad_perm:[0,0,0,0] row_mask:0xf bank_mask:0xf// 000000015E04: 0BF918FA FF0000FF
	v_mul_f32_dpp v253, v255, v141 quad_perm:[1,1,1,1] row_mask:0xf bank_mask:0xf// 000000015E0C: 0BFB1AFA FF0055FF
	v_mul_f32_dpp v254, v255, v142 quad_perm:[2,2,2,2] row_mask:0xf bank_mask:0xf// 000000015E14: 0BFD1CFA FF00AAFF
	v_mul_f32_dpp v255, v255, v143 quad_perm:[3,3,3,3] row_mask:0xf bank_mask:0xf// 000000015E1C: 0BFF1EFA FF00FFFF
	v_mov_b32_e32 v48, 0x358637bd                              // 000000015E24: 7E6002FF 358637BD
	v_max3_f32 v48, |v240|, |v241|, v48                        // 000000015E2C: D1D30330 04C3E3F0
	v_max3_f32 v48, |v242|, |v243|, v48                        // 000000015E34: D1D30330 04C3E7F2
	v_max3_f32 v48, |v244|, |v245|, v48                        // 000000015E3C: D1D30330 04C3EBF4
	v_max3_f32 v48, |v246|, |v247|, v48                        // 000000015E44: D1D30330 04C3EFF6
	v_max3_f32 v48, |v248|, |v249|, v48                        // 000000015E4C: D1D30330 04C3F3F8
	v_max3_f32 v48, |v250|, |v251|, v48                        // 000000015E54: D1D30330 04C3F7FA
	v_max3_f32 v48, |v252|, |v253|, v48                        // 000000015E5C: D1D30330 04C3FBFC
	v_max3_f32 v48, |v254|, |v255|, v48                        // 000000015E64: D1D30330 04C3FFFE
	ds_write_b32 v8, v48 offset:20992                          // 000000015E6C: D81A5200 00003008
	v_sub_f32_e32 v50, v12, v15                                // 000000015E74: 04641F0C
	v_cndmask_b32_e64 v50, v50, 0, s[40:41]                    // 000000015E78: D1000032 00A10132
	v_mov_b32_e32 v12, v15                                     // 000000015E80: 7E18030F
	v_mul_f32_e32 v50, s64, v50                                // 000000015E84: 0A646440
	v_exp_f32_e32 v50, v50                                     // 000000015E88: 7E644132
	s_waitcnt lgkmcnt(0)                                       // 000000015E8C: BF8CC07F
	s_barrier                                                  // 000000015E90: BF8A0000
	ds_read_b32 v64, v7 offset:20992                           // 000000015E94: D86C5200 40000007
	ds_read_b32 v65, v7 offset:21056                           // 000000015E9C: D86C5240 41000007
	ds_read_b32 v66, v7 offset:21120                           // 000000015EA4: D86C5280 42000007
	ds_read_b32 v67, v7 offset:21184                           // 000000015EAC: D86C52C0 43000007
	ds_read_b32 v68, v7 offset:21248                           // 000000015EB4: D86C5300 44000007
	ds_read_b32 v69, v7 offset:21312                           // 000000015EBC: D86C5340 45000007
	ds_read_b32 v70, v7 offset:21376                           // 000000015EC4: D86C5380 46000007
	ds_read_b32 v71, v7 offset:21440                           // 000000015ECC: D86C53C0 47000007
	ds_read_b32 v72, v7 offset:21504                           // 000000015ED4: D86C5400 48000007
	ds_read_b32 v73, v7 offset:21568                           // 000000015EDC: D86C5440 49000007
	ds_read_b32 v74, v7 offset:21632                           // 000000015EE4: D86C5480 4A000007
	ds_read_b32 v75, v7 offset:21696                           // 000000015EEC: D86C54C0 4B000007
	ds_read_b32 v76, v7 offset:21760                           // 000000015EF4: D86C5500 4C000007
	ds_read_b32 v77, v7 offset:21824                           // 000000015EFC: D86C5540 4D000007
	ds_read_b32 v78, v7 offset:21888                           // 000000015F04: D86C5580 4E000007
	ds_read_b32 v79, v7 offset:21952                           // 000000015F0C: D86C55C0 4F000007
	v_mul_f32_e32 v39, v50, v39                                // 000000015F14: 0A4E4F32
	v_mov_b32_e32 v15, v128                                    // 000000015F18: 7E1E0380
	v_add_f32_e32 v15, v129, v15                               // 000000015F1C: 021E1F81
	v_add_f32_e32 v15, v130, v15                               // 000000015F20: 021E1F82
	v_add_f32_e32 v15, v131, v15                               // 000000015F24: 021E1F83
	v_add_f32_e32 v15, v132, v15                               // 000000015F28: 021E1F84
	v_add_f32_e32 v15, v133, v15                               // 000000015F2C: 021E1F85
	v_add_f32_e32 v15, v134, v15                               // 000000015F30: 021E1F86
	v_add_f32_e32 v15, v135, v15                               // 000000015F34: 021E1F87
	v_add_f32_e32 v15, v136, v15                               // 000000015F38: 021E1F88
	v_add_f32_e32 v15, v137, v15                               // 000000015F3C: 021E1F89
	v_add_f32_e32 v15, v138, v15                               // 000000015F40: 021E1F8A
	v_add_f32_e32 v15, v139, v15                               // 000000015F44: 021E1F8B
	v_add_f32_e32 v15, v140, v15                               // 000000015F48: 021E1F8C
	v_add_f32_e32 v15, v141, v15                               // 000000015F4C: 021E1F8D
	v_add_f32_e32 v15, v142, v15                               // 000000015F50: 021E1F8E
	v_add_f32_e32 v15, v143, v15                               // 000000015F54: 021E1F8F
	v_add_f32_e32 v39, v15, v39                                // 000000015F58: 024E4F0F
	s_waitcnt lgkmcnt(0)                                       // 000000015F5C: BF8CC07F
	v_max3_f32 v48, |v64|, |v65|, v48                          // 000000015F60: D1D30330 04C28340
	v_max3_f32 v48, |v66|, |v67|, v48                          // 000000015F68: D1D30330 04C28742
	v_max3_f32 v48, |v68|, |v69|, v48                          // 000000015F70: D1D30330 04C28B44
	v_max3_f32 v48, |v70|, |v71|, v48                          // 000000015F78: D1D30330 04C28F46
	v_max3_f32 v48, |v72|, |v73|, v48                          // 000000015F80: D1D30330 04C29348
	v_max3_f32 v48, |v74|, |v75|, v48                          // 000000015F88: D1D30330 04C2974A
	v_max3_f32 v48, |v76|, |v77|, v48                          // 000000015F90: D1D30330 04C29B4C
	v_max3_f32 v48, |v78|, |v79|, v48                          // 000000015F98: D1D30330 04C29F4E
	s_nop 2                                                    // 000000015FA0: BF800002
	v_rcp_f32_e32 v48, v48                                     // 000000015FA4: 7E604530
	s_nop 1                                                    // 000000015FA8: BF800001
	v_mul_f32_e32 v48, 0x43e00000, v48                         // 000000015FAC: 0A6060FF 43E00000
	v_mul_f32_e32 v128, v48, v240                              // 000000015FB4: 0B01E130
	v_mul_f32_e32 v129, v48, v241                              // 000000015FB8: 0B03E330
	v_mul_f32_e32 v130, v48, v242                              // 000000015FBC: 0B05E530
	v_mul_f32_e32 v131, v48, v243                              // 000000015FC0: 0B07E730
	v_mul_f32_e32 v132, v48, v244                              // 000000015FC4: 0B09E930
	v_mul_f32_e32 v133, v48, v245                              // 000000015FC8: 0B0BEB30
	v_mul_f32_e32 v134, v48, v246                              // 000000015FCC: 0B0DED30
	v_mul_f32_e32 v135, v48, v247                              // 000000015FD0: 0B0FEF30
	v_mul_f32_e32 v136, v48, v248                              // 000000015FD4: 0B11F130
	v_mul_f32_e32 v137, v48, v249                              // 000000015FD8: 0B13F330
	v_mul_f32_e32 v138, v48, v250                              // 000000015FDC: 0B15F530
	v_mul_f32_e32 v139, v48, v251                              // 000000015FE0: 0B17F730
	v_mul_f32_e32 v140, v48, v252                              // 000000015FE4: 0B19F930
	v_mul_f32_e32 v141, v48, v253                              // 000000015FE8: 0B1BFB30
	v_mul_f32_e32 v142, v48, v254                              // 000000015FEC: 0B1DFD30
	v_mul_f32_e32 v143, v48, v255                              // 000000015FF0: 0B1FFF30
	v_cvt_pk_fp8_f32 v128, v128, v129                          // 000000015FF4: D2A20080 00030380
	v_cvt_pk_fp8_f32 v128, v130, v131 op_sel:[0,0,1]           // 000000015FFC: D2A24080 00030782
	v_cvt_pk_fp8_f32 v129, v132, v133                          // 000000016004: D2A20081 00030B84
	v_cvt_pk_fp8_f32 v129, v134, v135 op_sel:[0,0,1]           // 00000001600C: D2A24081 00030F86
	v_cvt_pk_fp8_f32 v130, v136, v137                          // 000000016014: D2A20082 00031388
	v_cvt_pk_fp8_f32 v130, v138, v139 op_sel:[0,0,1]           // 00000001601C: D2A24082 0003178A
	v_cvt_pk_fp8_f32 v131, v140, v141                          // 000000016024: D2A20083 00031B8C
	v_cvt_pk_fp8_f32 v131, v142, v143 op_sel:[0,0,1]           // 00000001602C: D2A24083 00031F8E
	ds_write_b32 v10, v128 offset:29184                        // 000000016034: D81A7200 0000800A
	ds_write_b32 v10, v129 offset:30208                        // 00000001603C: D81A7600 0000810A
	ds_write_b32 v10, v130 offset:31232                        // 000000016044: D81A7A00 0000820A
	ds_write_b32 v10, v131 offset:32256                        // 00000001604C: D81A7E00 0000830A
	v_add_f32_e32 v216, v216, v184                             // 000000016054: 03B171D8
	v_add_f32_e32 v217, v217, v185                             // 000000016058: 03B373D9
	v_add_f32_e32 v218, v218, v186                             // 00000001605C: 03B575DA
	v_add_f32_e32 v219, v219, v187                             // 000000016060: 03B777DB
	v_add_f32_e32 v220, v220, v188                             // 000000016064: 03B979DC
	v_add_f32_e32 v221, v221, v189                             // 000000016068: 03BB7BDD
	v_add_f32_e32 v222, v222, v190                             // 00000001606C: 03BD7DDE
	v_add_f32_e32 v223, v223, v191                             // 000000016070: 03BF7FDF
	v_rcp_f32_e32 v45, v48                                     // 000000016074: 7E5A4530
	s_waitcnt lgkmcnt(0)                                       // 000000016078: BF8CC07F
	s_barrier                                                  // 00000001607C: BF8A0000
	ds_read_b64 v[128:129], v9 offset:29184                    // 000000016080: D8EC7200 80000009
	ds_read_b64 v[130:131], v9 offset:29312                    // 000000016088: D8EC7280 82000009
	ds_read_b64 v[132:133], v9 offset:30208                    // 000000016090: D8EC7600 84000009
	ds_read_b64 v[134:135], v9 offset:30336                    // 000000016098: D8EC7680 86000009
	ds_read_b64 v[136:137], v9 offset:31232                    // 0000000160A0: D8EC7A00 88000009
	ds_read_b64 v[138:139], v9 offset:31360                    // 0000000160A8: D8EC7A80 8A000009
	ds_read_b64 v[140:141], v9 offset:32256                    // 0000000160B0: D8EC7E00 8C000009
	ds_read_b64 v[142:143], v9 offset:32384                    // 0000000160B8: D8EC7E80 8E000009
	v_mov_b32_dpp v64, v42 row_shr:4 row_mask:0xf bank_mask:0xf// 0000000160C0: 7E8002FA FF01142A
	v_mov_b32_dpp v65, v42 row_shl:4 row_mask:0xf bank_mask:0xf// 0000000160C8: 7E8202FA FF01042A
	v_cndmask_b32_e64 v248, v42, v64, s[44:45]                 // 0000000160D0: D10000F8 00B2812A
	v_cndmask_b32_e64 v249, v65, v42, s[44:45]                 // 0000000160D8: D10000F9 00B25541
	v_mov_b32_dpp v64, v248 row_shr:8 row_mask:0xf bank_mask:0xf// 0000000160E0: 7E8002FA FF0118F8
	v_mov_b32_dpp v65, v248 row_shl:8 row_mask:0xf bank_mask:0xf// 0000000160E8: 7E8202FA FF0108F8
	v_mov_b32_dpp v66, v249 row_shr:8 row_mask:0xf bank_mask:0xf// 0000000160F0: 7E8402FA FF0118F9
	v_mov_b32_dpp v67, v249 row_shl:8 row_mask:0xf bank_mask:0xf// 0000000160F8: 7E8602FA FF0108F9
	v_mov_b32_e32 v68, v248                                    // 000000016100: 7E8803F8
	v_mov_b32_e32 v69, v249                                    // 000000016104: 7E8A03F9
	v_cndmask_b32_e64 v248, v68, v64, s[42:43]                 // 000000016108: D10000F8 00AA8144
	v_cndmask_b32_e64 v250, v68, v65, s[78:79]                 // 000000016110: D10000FA 013A8344
	v_cndmask_b32_e64 v249, v69, v66, s[42:43]                 // 000000016118: D10000F9 00AA8545
	v_cndmask_b32_e64 v251, v69, v67, s[78:79]                 // 000000016120: D10000FB 013A8745
	v_mov_b32_dpp v64, v57 row_shr:4 row_mask:0xf bank_mask:0xf// 000000016128: 7E8002FA FF011439
	v_mov_b32_dpp v65, v57 row_shl:4 row_mask:0xf bank_mask:0xf// 000000016130: 7E8202FA FF010439
	v_cndmask_b32_e64 v252, v57, v64, s[44:45]                 // 000000016138: D10000FC 00B28139
	v_cndmask_b32_e64 v253, v65, v57, s[44:45]                 // 000000016140: D10000FD 00B27341
	v_mov_b32_dpp v64, v252 row_shr:8 row_mask:0xf bank_mask:0xf// 000000016148: 7E8002FA FF0118FC
	v_mov_b32_dpp v65, v252 row_shl:8 row_mask:0xf bank_mask:0xf// 000000016150: 7E8202FA FF0108FC
	v_mov_b32_dpp v66, v253 row_shr:8 row_mask:0xf bank_mask:0xf// 000000016158: 7E8402FA FF0118FD
	v_mov_b32_dpp v67, v253 row_shl:8 row_mask:0xf bank_mask:0xf// 000000016160: 7E8602FA FF0108FD
	v_mov_b32_e32 v68, v252                                    // 000000016168: 7E8803FC
	v_mov_b32_e32 v69, v253                                    // 00000001616C: 7E8A03FD
	v_cndmask_b32_e64 v252, v68, v64, s[42:43]                 // 000000016170: D10000FC 00AA8144
	v_cndmask_b32_e64 v254, v68, v65, s[78:79]                 // 000000016178: D10000FE 013A8344
	v_cndmask_b32_e64 v253, v69, v66, s[42:43]                 // 000000016180: D10000FD 00AA8545
	v_cndmask_b32_e64 v255, v69, v67, s[78:79]                 // 000000016188: D10000FF 013A8745
	v_mul_f32_e32 v144, v20, v144                              // 000000016190: 0B212114
	v_mul_f32_e32 v145, v20, v145                              // 000000016194: 0B232314
	v_mul_f32_e32 v146, v20, v146                              // 000000016198: 0B252514
	v_mul_f32_e32 v147, v20, v147                              // 00000001619C: 0B272714
	v_mul_f32_e32 v148, v20, v148                              // 0000000161A0: 0B292914
	v_mul_f32_e32 v149, v20, v149                              // 0000000161A4: 0B2B2B14
	v_mul_f32_e32 v150, v20, v150                              // 0000000161A8: 0B2D2D14
	v_mul_f32_e32 v151, v20, v151                              // 0000000161AC: 0B2F2F14
	v_mul_f32_e32 v152, v20, v152                              // 0000000161B0: 0B313114
	v_mul_f32_e32 v153, v20, v153                              // 0000000161B4: 0B333314
	v_mul_f32_e32 v154, v20, v154                              // 0000000161B8: 0B353514
	v_mul_f32_e32 v155, v20, v155                              // 0000000161BC: 0B373714
	v_mul_f32_e32 v156, v20, v156                              // 0000000161C0: 0B393914
	v_mul_f32_e32 v157, v20, v157                              // 0000000161C4: 0B3B3B14
	v_mul_f32_e32 v158, v20, v158                              // 0000000161C8: 0B3D3D14
	v_mul_f32_e32 v159, v20, v159                              // 0000000161CC: 0B3F3F14
	v_mul_f32_dpp v144, v248, v144 quad_perm:[0,0,0,0] row_mask:0xf bank_mask:0xf// 0000000161D0: 0B2120FA FF0000F8
	v_mul_f32_dpp v145, v248, v145 quad_perm:[1,1,1,1] row_mask:0xf bank_mask:0xf// 0000000161D8: 0B2322FA FF0055F8
	v_mul_f32_dpp v146, v248, v146 quad_perm:[2,2,2,2] row_mask:0xf bank_mask:0xf// 0000000161E0: 0B2524FA FF00AAF8
	v_mul_f32_dpp v147, v248, v147 quad_perm:[3,3,3,3] row_mask:0xf bank_mask:0xf// 0000000161E8: 0B2726FA FF00FFF8
	v_mul_f32_dpp v148, v249, v148 quad_perm:[0,0,0,0] row_mask:0xf bank_mask:0xf// 0000000161F0: 0B2928FA FF0000F9
	v_mul_f32_dpp v149, v249, v149 quad_perm:[1,1,1,1] row_mask:0xf bank_mask:0xf// 0000000161F8: 0B2B2AFA FF0055F9
	v_mul_f32_dpp v150, v249, v150 quad_perm:[2,2,2,2] row_mask:0xf bank_mask:0xf// 000000016200: 0B2D2CFA FF00AAF9
	v_mul_f32_dpp v151, v249, v151 quad_perm:[3,3,3,3] row_mask:0xf bank_mask:0xf// 000000016208: 0B2F2EFA FF00FFF9
	v_mul_f32_dpp v152, v250, v152 quad_perm:[0,0,0,0] row_mask:0xf bank_mask:0xf// 000000016210: 0B3130FA FF0000FA
	v_mul_f32_dpp v153, v250, v153 quad_perm:[1,1,1,1] row_mask:0xf bank_mask:0xf// 000000016218: 0B3332FA FF0055FA
	v_mul_f32_dpp v154, v250, v154 quad_perm:[2,2,2,2] row_mask:0xf bank_mask:0xf// 000000016220: 0B3534FA FF00AAFA
	v_mul_f32_dpp v155, v250, v155 quad_perm:[3,3,3,3] row_mask:0xf bank_mask:0xf// 000000016228: 0B3736FA FF00FFFA
	v_mul_f32_dpp v156, v251, v156 quad_perm:[0,0,0,0] row_mask:0xf bank_mask:0xf// 000000016230: 0B3938FA FF0000FB
	v_mul_f32_dpp v157, v251, v157 quad_perm:[1,1,1,1] row_mask:0xf bank_mask:0xf// 000000016238: 0B3B3AFA FF0055FB
	v_mul_f32_dpp v158, v251, v158 quad_perm:[2,2,2,2] row_mask:0xf bank_mask:0xf// 000000016240: 0B3D3CFA FF00AAFB
	v_mul_f32_dpp v159, v251, v159 quad_perm:[3,3,3,3] row_mask:0xf bank_mask:0xf// 000000016248: 0B3F3EFA FF00FFFB
	s_and_b32 s60, s72, 0xff                                   // 000000016250: 863CFF48 000000FF
	v_mov_b32_e32 v65, s60                                     // 000000016258: 7E82023C
	v_lshrrev_b32_e32 v240, 4, v0                              // 00000001625C: 21E00084
	v_mul_i32_i24_e32 v240, 4, v240                            // 000000016260: 0DE1E084
	s_mul_i32 s60, s7, 16                                      // 000000016264: 923C9007
	v_add_u32_e32 v240, s60, v240                              // 000000016268: 69E1E03C
	v_add_u32_e32 v241, 1, v240                                // 00000001626C: 69E3E081
	v_add_u32_e32 v242, 2, v240                                // 000000016270: 69E5E082
	v_add_u32_e32 v243, 3, v240                                // 000000016274: 69E7E083
	v_mov_b32_e32 v64, 0xff800000                              // 000000016278: 7E8002FF FF800000
	v_cmp_lt_u32_e64 s[40:41], v240, v65                       // 000000016280: D0C90028 000283F0
	v_add_u32_e32 v240, 64, v240                               // 000000016288: 69E1E0C0
	s_nop 0                                                    // 00000001628C: BF800000
	v_cndmask_b32_e64 v144, v64, v144, s[40:41]                // 000000016290: D1000090 00A32140
	v_cmp_lt_u32_e64 s[40:41], v241, v65                       // 000000016298: D0C90028 000283F1
	v_add_u32_e32 v241, 64, v241                               // 0000000162A0: 69E3E2C0
	s_nop 0                                                    // 0000000162A4: BF800000
	v_cndmask_b32_e64 v145, v64, v145, s[40:41]                // 0000000162A8: D1000091 00A32340
	v_cmp_lt_u32_e64 s[40:41], v242, v65                       // 0000000162B0: D0C90028 000283F2
	v_add_u32_e32 v242, 64, v242                               // 0000000162B8: 69E5E4C0
	s_nop 0                                                    // 0000000162BC: BF800000
	v_cndmask_b32_e64 v146, v64, v146, s[40:41]                // 0000000162C0: D1000092 00A32540
	v_cmp_lt_u32_e64 s[40:41], v243, v65                       // 0000000162C8: D0C90028 000283F3
	v_add_u32_e32 v243, 64, v243                               // 0000000162D0: 69E7E6C0
	s_nop 0                                                    // 0000000162D4: BF800000
	v_cndmask_b32_e64 v147, v64, v147, s[40:41]                // 0000000162D8: D1000093 00A32740
	v_cmp_lt_u32_e64 s[40:41], v240, v65                       // 0000000162E0: D0C90028 000283F0
	v_add_u32_e32 v240, 64, v240                               // 0000000162E8: 69E1E0C0
	s_nop 0                                                    // 0000000162EC: BF800000
	v_cndmask_b32_e64 v148, v64, v148, s[40:41]                // 0000000162F0: D1000094 00A32940
	v_cmp_lt_u32_e64 s[40:41], v241, v65                       // 0000000162F8: D0C90028 000283F1
	v_add_u32_e32 v241, 64, v241                               // 000000016300: 69E3E2C0
	s_nop 0                                                    // 000000016304: BF800000
	v_cndmask_b32_e64 v149, v64, v149, s[40:41]                // 000000016308: D1000095 00A32B40
	v_cmp_lt_u32_e64 s[40:41], v242, v65                       // 000000016310: D0C90028 000283F2
	v_add_u32_e32 v242, 64, v242                               // 000000016318: 69E5E4C0
	s_nop 0                                                    // 00000001631C: BF800000
	v_cndmask_b32_e64 v150, v64, v150, s[40:41]                // 000000016320: D1000096 00A32D40
	v_cmp_lt_u32_e64 s[40:41], v243, v65                       // 000000016328: D0C90028 000283F3
	v_add_u32_e32 v243, 64, v243                               // 000000016330: 69E7E6C0
	s_nop 0                                                    // 000000016334: BF800000
	v_cndmask_b32_e64 v151, v64, v151, s[40:41]                // 000000016338: D1000097 00A32F40
	v_cmp_lt_u32_e64 s[40:41], v240, v65                       // 000000016340: D0C90028 000283F0
	v_add_u32_e32 v240, 64, v240                               // 000000016348: 69E1E0C0
	s_nop 0                                                    // 00000001634C: BF800000
	v_cndmask_b32_e64 v152, v64, v152, s[40:41]                // 000000016350: D1000098 00A33140
	v_cmp_lt_u32_e64 s[40:41], v241, v65                       // 000000016358: D0C90028 000283F1
	v_add_u32_e32 v241, 64, v241                               // 000000016360: 69E3E2C0
	s_nop 0                                                    // 000000016364: BF800000
	v_cndmask_b32_e64 v153, v64, v153, s[40:41]                // 000000016368: D1000099 00A33340
	v_cmp_lt_u32_e64 s[40:41], v242, v65                       // 000000016370: D0C90028 000283F2
	v_add_u32_e32 v242, 64, v242                               // 000000016378: 69E5E4C0
	s_nop 0                                                    // 00000001637C: BF800000
	v_cndmask_b32_e64 v154, v64, v154, s[40:41]                // 000000016380: D100009A 00A33540
	v_cmp_lt_u32_e64 s[40:41], v243, v65                       // 000000016388: D0C90028 000283F3
	v_add_u32_e32 v243, 64, v243                               // 000000016390: 69E7E6C0
	s_nop 0                                                    // 000000016394: BF800000
	v_cndmask_b32_e64 v155, v64, v155, s[40:41]                // 000000016398: D100009B 00A33740
	v_cmp_lt_u32_e64 s[40:41], v240, v65                       // 0000000163A0: D0C90028 000283F0
	v_add_u32_e32 v240, 64, v240                               // 0000000163A8: 69E1E0C0
	s_nop 0                                                    // 0000000163AC: BF800000
	v_cndmask_b32_e64 v156, v64, v156, s[40:41]                // 0000000163B0: D100009C 00A33940
	v_cmp_lt_u32_e64 s[40:41], v241, v65                       // 0000000163B8: D0C90028 000283F1
	v_add_u32_e32 v241, 64, v241                               // 0000000163C0: 69E3E2C0
	s_nop 0                                                    // 0000000163C4: BF800000
	v_cndmask_b32_e64 v157, v64, v157, s[40:41]                // 0000000163C8: D100009D 00A33B40
	v_cmp_lt_u32_e64 s[40:41], v242, v65                       // 0000000163D0: D0C90028 000283F2
	v_add_u32_e32 v242, 64, v242                               // 0000000163D8: 69E5E4C0
	s_nop 0                                                    // 0000000163DC: BF800000
	v_cndmask_b32_e64 v158, v64, v158, s[40:41]                // 0000000163E0: D100009E 00A33D40
	v_cmp_lt_u32_e64 s[40:41], v243, v65                       // 0000000163E8: D0C90028 000283F3
	v_add_u32_e32 v243, 64, v243                               // 0000000163F0: 69E7E6C0
	s_nop 0                                                    // 0000000163F4: BF800000
	v_cndmask_b32_e64 v159, v64, v159, s[40:41]                // 0000000163F8: D100009F 00A33F40
	v_mov_b32_e32 v48, v144                                    // 000000016400: 7E600390
	v_max3_f32 v48, v144, v145, v48                            // 000000016404: D1D30030 04C32390
	v_max3_f32 v48, v146, v147, v48                            // 00000001640C: D1D30030 04C32792
	v_max3_f32 v48, v148, v149, v48                            // 000000016414: D1D30030 04C32B94
	v_max3_f32 v48, v150, v151, v48                            // 00000001641C: D1D30030 04C32F96
	v_max3_f32 v48, v152, v153, v48                            // 000000016424: D1D30030 04C33398
	v_max3_f32 v48, v154, v155, v48                            // 00000001642C: D1D30030 04C3379A
	v_max3_f32 v48, v156, v157, v48                            // 000000016434: D1D30030 04C33B9C
	v_max3_f32 v48, v158, v159, v48                            // 00000001643C: D1D30030 04C33F9E
	ds_write_b32 v8, v48 offset:16896                          // 000000016444: D81A4200 00003008
	v_mul_f32_e32 v224, v51, v224                              // 00000001644C: 0BC1C133
	v_mul_f32_e32 v225, v51, v225                              // 000000016450: 0BC3C333
	v_mul_f32_e32 v226, v51, v226                              // 000000016454: 0BC5C533
	v_mul_f32_e32 v227, v51, v227                              // 000000016458: 0BC7C733
	v_mul_f32_e32 v228, v51, v228                              // 00000001645C: 0BC9C933
	v_mul_f32_e32 v229, v51, v229                              // 000000016460: 0BCBCB33
	v_mul_f32_e32 v230, v51, v230                              // 000000016464: 0BCDCD33
	v_mul_f32_e32 v231, v51, v231                              // 000000016468: 0BCFCF33
	s_waitcnt lgkmcnt(0)                                       // 00000001646C: BF8CC07F
	s_barrier                                                  // 000000016470: BF8A0000
	ds_read_b32 v64, v7 offset:16896                           // 000000016474: D86C4200 40000007
	ds_read_b32 v65, v7 offset:16960                           // 00000001647C: D86C4240 41000007
	ds_read_b32 v66, v7 offset:17024                           // 000000016484: D86C4280 42000007
	ds_read_b32 v67, v7 offset:17088                           // 00000001648C: D86C42C0 43000007
	ds_read_b32 v68, v7 offset:17152                           // 000000016494: D86C4300 44000007
	ds_read_b32 v69, v7 offset:17216                           // 00000001649C: D86C4340 45000007
	ds_read_b32 v70, v7 offset:17280                           // 0000000164A4: D86C4380 46000007
	ds_read_b32 v71, v7 offset:17344                           // 0000000164AC: D86C43C0 47000007
	ds_read_b32 v72, v7 offset:17408                           // 0000000164B4: D86C4400 48000007
	ds_read_b32 v73, v7 offset:17472                           // 0000000164BC: D86C4440 49000007
	ds_read_b32 v74, v7 offset:17536                           // 0000000164C4: D86C4480 4A000007
	ds_read_b32 v75, v7 offset:17600                           // 0000000164CC: D86C44C0 4B000007
	ds_read_b32 v76, v7 offset:17664                           // 0000000164D4: D86C4500 4C000007
	ds_read_b32 v77, v7 offset:17728                           // 0000000164DC: D86C4540 4D000007
	ds_read_b32 v78, v7 offset:17792                           // 0000000164E4: D86C4580 4E000007
	ds_read_b32 v79, v7 offset:17856                           // 0000000164EC: D86C45C0 4F000007
	v_mul_f32_e32 v192, v46, v192                              // 0000000164F4: 0B81812E
	v_mul_f32_e32 v193, v46, v193                              // 0000000164F8: 0B83832E
	v_mul_f32_e32 v194, v46, v194                              // 0000000164FC: 0B85852E
	v_mul_f32_e32 v195, v46, v195                              // 000000016500: 0B87872E
	v_mul_f32_e32 v196, v46, v196                              // 000000016504: 0B89892E
	v_mul_f32_e32 v197, v46, v197                              // 000000016508: 0B8B8B2E
	v_mul_f32_e32 v198, v46, v198                              // 00000001650C: 0B8D8D2E
	v_mul_f32_e32 v199, v46, v199                              // 000000016510: 0B8F8F2E
	s_waitcnt lgkmcnt(0)                                       // 000000016514: BF8CC07F
	v_max3_f32 v48, v64, v65, v48                              // 000000016518: D1D30030 04C28340
	v_max3_f32 v48, v66, v67, v48                              // 000000016520: D1D30030 04C28742
	v_max3_f32 v48, v68, v69, v48                              // 000000016528: D1D30030 04C28B44
	v_max3_f32 v48, v70, v71, v48                              // 000000016530: D1D30030 04C28F46
	v_max3_f32 v48, v72, v73, v48                              // 000000016538: D1D30030 04C29348
	v_max3_f32 v48, v74, v75, v48                              // 000000016540: D1D30030 04C2974A
	v_max3_f32 v48, v76, v77, v48                              // 000000016548: D1D30030 04C29B4C
	v_max3_f32 v48, v78, v79, v48                              // 000000016550: D1D30030 04C29F4E
	v_mov_b32_e32 v64, 0xff800000                              // 000000016558: 7E8002FF FF800000
	v_cmp_eq_u32_e64 s[40:41], v64, v13                        // 000000016560: D0CA0028 00021B40
	s_nop 1                                                    // 000000016568: BF800001
	v_max_f32_e32 v15, v48, v13                                // 00000001656C: 161E1B30
	v_mul_f32_e32 v53, s64, v15                                // 000000016570: 0A6A1E40
	v_fma_f32 v144, v144, s64, -v53                            // 000000016574: D1CB0090 84D48190
	v_fma_f32 v145, v145, s64, -v53                            // 00000001657C: D1CB0091 84D48191
	v_fma_f32 v146, v146, s64, -v53                            // 000000016584: D1CB0092 84D48192
	v_fma_f32 v147, v147, s64, -v53                            // 00000001658C: D1CB0093 84D48193
	v_fma_f32 v148, v148, s64, -v53                            // 000000016594: D1CB0094 84D48194
	v_fma_f32 v149, v149, s64, -v53                            // 00000001659C: D1CB0095 84D48195
	v_fma_f32 v150, v150, s64, -v53                            // 0000000165A4: D1CB0096 84D48196
	v_fma_f32 v151, v151, s64, -v53                            // 0000000165AC: D1CB0097 84D48197
	v_fma_f32 v152, v152, s64, -v53                            // 0000000165B4: D1CB0098 84D48198
	v_fma_f32 v153, v153, s64, -v53                            // 0000000165BC: D1CB0099 84D48199
	v_fma_f32 v154, v154, s64, -v53                            // 0000000165C4: D1CB009A 84D4819A
	v_fma_f32 v155, v155, s64, -v53                            // 0000000165CC: D1CB009B 84D4819B
	v_fma_f32 v156, v156, s64, -v53                            // 0000000165D4: D1CB009C 84D4819C
	v_fma_f32 v157, v157, s64, -v53                            // 0000000165DC: D1CB009D 84D4819D
	v_fma_f32 v158, v158, s64, -v53                            // 0000000165E4: D1CB009E 84D4819E
	v_fma_f32 v159, v159, s64, -v53                            // 0000000165EC: D1CB009F 84D4819F
	v_exp_f32_e32 v144, v144                                   // 0000000165F4: 7F204190
	v_exp_f32_e32 v145, v145                                   // 0000000165F8: 7F224191
	v_exp_f32_e32 v146, v146                                   // 0000000165FC: 7F244192
	v_exp_f32_e32 v147, v147                                   // 000000016600: 7F264193
	v_exp_f32_e32 v148, v148                                   // 000000016604: 7F284194
	v_exp_f32_e32 v149, v149                                   // 000000016608: 7F2A4195
	v_exp_f32_e32 v150, v150                                   // 00000001660C: 7F2C4196
	v_exp_f32_e32 v151, v151                                   // 000000016610: 7F2E4197
	v_exp_f32_e32 v152, v152                                   // 000000016614: 7F304198
	v_exp_f32_e32 v153, v153                                   // 000000016618: 7F324199
	v_exp_f32_e32 v154, v154                                   // 00000001661C: 7F34419A
	v_exp_f32_e32 v155, v155                                   // 000000016620: 7F36419B
	v_exp_f32_e32 v156, v156                                   // 000000016624: 7F38419C
	v_exp_f32_e32 v157, v157                                   // 000000016628: 7F3A419D
	v_exp_f32_e32 v158, v158                                   // 00000001662C: 7F3C419E
	v_exp_f32_e32 v159, v159                                   // 000000016630: 7F3E419F
	v_mul_f32_dpp v240, v252, v144 quad_perm:[0,0,0,0] row_mask:0xf bank_mask:0xf// 000000016634: 0BE120FA FF0000FC
	v_mul_f32_dpp v241, v252, v145 quad_perm:[1,1,1,1] row_mask:0xf bank_mask:0xf// 00000001663C: 0BE322FA FF0055FC
	v_mul_f32_dpp v242, v252, v146 quad_perm:[2,2,2,2] row_mask:0xf bank_mask:0xf// 000000016644: 0BE524FA FF00AAFC
	v_mul_f32_dpp v243, v252, v147 quad_perm:[3,3,3,3] row_mask:0xf bank_mask:0xf// 00000001664C: 0BE726FA FF00FFFC
	v_mul_f32_dpp v244, v253, v148 quad_perm:[0,0,0,0] row_mask:0xf bank_mask:0xf// 000000016654: 0BE928FA FF0000FD
	v_mul_f32_dpp v245, v253, v149 quad_perm:[1,1,1,1] row_mask:0xf bank_mask:0xf// 00000001665C: 0BEB2AFA FF0055FD
	v_mul_f32_dpp v246, v253, v150 quad_perm:[2,2,2,2] row_mask:0xf bank_mask:0xf// 000000016664: 0BED2CFA FF00AAFD
	v_mul_f32_dpp v247, v253, v151 quad_perm:[3,3,3,3] row_mask:0xf bank_mask:0xf// 00000001666C: 0BEF2EFA FF00FFFD
	v_mul_f32_dpp v248, v254, v152 quad_perm:[0,0,0,0] row_mask:0xf bank_mask:0xf// 000000016674: 0BF130FA FF0000FE
	v_mul_f32_dpp v249, v254, v153 quad_perm:[1,1,1,1] row_mask:0xf bank_mask:0xf// 00000001667C: 0BF332FA FF0055FE
	v_mul_f32_dpp v250, v254, v154 quad_perm:[2,2,2,2] row_mask:0xf bank_mask:0xf// 000000016684: 0BF534FA FF00AAFE
	v_mul_f32_dpp v251, v254, v155 quad_perm:[3,3,3,3] row_mask:0xf bank_mask:0xf// 00000001668C: 0BF736FA FF00FFFE
	v_mul_f32_dpp v252, v255, v156 quad_perm:[0,0,0,0] row_mask:0xf bank_mask:0xf// 000000016694: 0BF938FA FF0000FF
	v_mul_f32_dpp v253, v255, v157 quad_perm:[1,1,1,1] row_mask:0xf bank_mask:0xf// 00000001669C: 0BFB3AFA FF0055FF
	v_mul_f32_dpp v254, v255, v158 quad_perm:[2,2,2,2] row_mask:0xf bank_mask:0xf// 0000000166A4: 0BFD3CFA FF00AAFF
	v_mul_f32_dpp v255, v255, v159 quad_perm:[3,3,3,3] row_mask:0xf bank_mask:0xf// 0000000166AC: 0BFF3EFA FF00FFFF
	v_mov_b32_e32 v48, 0x358637bd                              // 0000000166B4: 7E6002FF 358637BD
	v_max3_f32 v48, |v240|, |v241|, v48                        // 0000000166BC: D1D30330 04C3E3F0
	v_max3_f32 v48, |v242|, |v243|, v48                        // 0000000166C4: D1D30330 04C3E7F2
	v_max3_f32 v48, |v244|, |v245|, v48                        // 0000000166CC: D1D30330 04C3EBF4
	v_max3_f32 v48, |v246|, |v247|, v48                        // 0000000166D4: D1D30330 04C3EFF6
	v_max3_f32 v48, |v248|, |v249|, v48                        // 0000000166DC: D1D30330 04C3F3F8
	v_max3_f32 v48, |v250|, |v251|, v48                        // 0000000166E4: D1D30330 04C3F7FA
	v_max3_f32 v48, |v252|, |v253|, v48                        // 0000000166EC: D1D30330 04C3FBFC
	v_max3_f32 v48, |v254|, |v255|, v48                        // 0000000166F4: D1D30330 04C3FFFE
	ds_write_b32 v8, v48 offset:20992                          // 0000000166FC: D81A5200 00003008
	v_sub_f32_e32 v51, v13, v15                                // 000000016704: 04661F0D
	v_cndmask_b32_e64 v51, v51, 0, s[40:41]                    // 000000016708: D1000033 00A10133
	v_mov_b32_e32 v13, v15                                     // 000000016710: 7E1A030F
	v_mul_f32_e32 v51, s64, v51                                // 000000016714: 0A666640
	v_exp_f32_e32 v51, v51                                     // 000000016718: 7E664133
	s_waitcnt lgkmcnt(0)                                       // 00000001671C: BF8CC07F
	s_barrier                                                  // 000000016720: BF8A0000
	ds_read_b32 v64, v7 offset:20992                           // 000000016724: D86C5200 40000007
	ds_read_b32 v65, v7 offset:21056                           // 00000001672C: D86C5240 41000007
	ds_read_b32 v66, v7 offset:21120                           // 000000016734: D86C5280 42000007
	ds_read_b32 v67, v7 offset:21184                           // 00000001673C: D86C52C0 43000007
	ds_read_b32 v68, v7 offset:21248                           // 000000016744: D86C5300 44000007
	ds_read_b32 v69, v7 offset:21312                           // 00000001674C: D86C5340 45000007
	ds_read_b32 v70, v7 offset:21376                           // 000000016754: D86C5380 46000007
	ds_read_b32 v71, v7 offset:21440                           // 00000001675C: D86C53C0 47000007
	ds_read_b32 v72, v7 offset:21504                           // 000000016764: D86C5400 48000007
	ds_read_b32 v73, v7 offset:21568                           // 00000001676C: D86C5440 49000007
	ds_read_b32 v74, v7 offset:21632                           // 000000016774: D86C5480 4A000007
	ds_read_b32 v75, v7 offset:21696                           // 00000001677C: D86C54C0 4B000007
	ds_read_b32 v76, v7 offset:21760                           // 000000016784: D86C5500 4C000007
	ds_read_b32 v77, v7 offset:21824                           // 00000001678C: D86C5540 4D000007
	ds_read_b32 v78, v7 offset:21888                           // 000000016794: D86C5580 4E000007
	ds_read_b32 v79, v7 offset:21952                           // 00000001679C: D86C55C0 4F000007
	v_mul_f32_e32 v40, v51, v40                                // 0000000167A4: 0A505133
	v_mov_b32_e32 v15, v144                                    // 0000000167A8: 7E1E0390
	v_add_f32_e32 v15, v145, v15                               // 0000000167AC: 021E1F91
	v_add_f32_e32 v15, v146, v15                               // 0000000167B0: 021E1F92
	v_add_f32_e32 v15, v147, v15                               // 0000000167B4: 021E1F93
	v_add_f32_e32 v15, v148, v15                               // 0000000167B8: 021E1F94
	v_add_f32_e32 v15, v149, v15                               // 0000000167BC: 021E1F95
	v_add_f32_e32 v15, v150, v15                               // 0000000167C0: 021E1F96
	v_add_f32_e32 v15, v151, v15                               // 0000000167C4: 021E1F97
	v_add_f32_e32 v15, v152, v15                               // 0000000167C8: 021E1F98
	v_add_f32_e32 v15, v153, v15                               // 0000000167CC: 021E1F99
	v_add_f32_e32 v15, v154, v15                               // 0000000167D0: 021E1F9A
	v_add_f32_e32 v15, v155, v15                               // 0000000167D4: 021E1F9B
	v_add_f32_e32 v15, v156, v15                               // 0000000167D8: 021E1F9C
	v_add_f32_e32 v15, v157, v15                               // 0000000167DC: 021E1F9D
	v_add_f32_e32 v15, v158, v15                               // 0000000167E0: 021E1F9E
	v_add_f32_e32 v15, v159, v15                               // 0000000167E4: 021E1F9F
	v_add_f32_e32 v40, v15, v40                                // 0000000167E8: 0250510F
	s_waitcnt lgkmcnt(0)                                       // 0000000167EC: BF8CC07F
	v_max3_f32 v48, |v64|, |v65|, v48                          // 0000000167F0: D1D30330 04C28340
	v_max3_f32 v48, |v66|, |v67|, v48                          // 0000000167F8: D1D30330 04C28742
	v_max3_f32 v48, |v68|, |v69|, v48                          // 000000016800: D1D30330 04C28B44
	v_max3_f32 v48, |v70|, |v71|, v48                          // 000000016808: D1D30330 04C28F46
	v_max3_f32 v48, |v72|, |v73|, v48                          // 000000016810: D1D30330 04C29348
	v_max3_f32 v48, |v74|, |v75|, v48                          // 000000016818: D1D30330 04C2974A
	v_max3_f32 v48, |v76|, |v77|, v48                          // 000000016820: D1D30330 04C29B4C
	v_max3_f32 v48, |v78|, |v79|, v48                          // 000000016828: D1D30330 04C29F4E
	s_nop 2                                                    // 000000016830: BF800002
	v_rcp_f32_e32 v48, v48                                     // 000000016834: 7E604530
	s_nop 1                                                    // 000000016838: BF800001
	v_mul_f32_e32 v48, 0x43e00000, v48                         // 00000001683C: 0A6060FF 43E00000
	v_mul_f32_e32 v144, v48, v240                              // 000000016844: 0B21E130
	v_mul_f32_e32 v145, v48, v241                              // 000000016848: 0B23E330
	v_mul_f32_e32 v146, v48, v242                              // 00000001684C: 0B25E530
	v_mul_f32_e32 v147, v48, v243                              // 000000016850: 0B27E730
	v_mul_f32_e32 v148, v48, v244                              // 000000016854: 0B29E930
	v_mul_f32_e32 v149, v48, v245                              // 000000016858: 0B2BEB30
	v_mul_f32_e32 v150, v48, v246                              // 00000001685C: 0B2DED30
	v_mul_f32_e32 v151, v48, v247                              // 000000016860: 0B2FEF30
	v_mul_f32_e32 v152, v48, v248                              // 000000016864: 0B31F130
	v_mul_f32_e32 v153, v48, v249                              // 000000016868: 0B33F330
	v_mul_f32_e32 v154, v48, v250                              // 00000001686C: 0B35F530
	v_mul_f32_e32 v155, v48, v251                              // 000000016870: 0B37F730
	v_mul_f32_e32 v156, v48, v252                              // 000000016874: 0B39F930
	v_mul_f32_e32 v157, v48, v253                              // 000000016878: 0B3BFB30
	v_mul_f32_e32 v158, v48, v254                              // 00000001687C: 0B3DFD30
	v_mul_f32_e32 v159, v48, v255                              // 000000016880: 0B3FFF30
	v_cvt_pk_fp8_f32 v144, v144, v145                          // 000000016884: D2A20090 00032390
	v_cvt_pk_fp8_f32 v144, v146, v147 op_sel:[0,0,1]           // 00000001688C: D2A24090 00032792
	v_cvt_pk_fp8_f32 v145, v148, v149                          // 000000016894: D2A20091 00032B94
	v_cvt_pk_fp8_f32 v145, v150, v151 op_sel:[0,0,1]           // 00000001689C: D2A24091 00032F96
	v_cvt_pk_fp8_f32 v146, v152, v153                          // 0000000168A4: D2A20092 00033398
	v_cvt_pk_fp8_f32 v146, v154, v155 op_sel:[0,0,1]           // 0000000168AC: D2A24092 0003379A
	v_cvt_pk_fp8_f32 v147, v156, v157                          // 0000000168B4: D2A20093 00033B9C
	v_cvt_pk_fp8_f32 v147, v158, v159 op_sel:[0,0,1]           // 0000000168BC: D2A24093 00033F9E
	ds_write_b32 v10, v144 offset:33280                        // 0000000168C4: D81A8200 0000900A
	ds_write_b32 v10, v145 offset:34304                        // 0000000168CC: D81A8600 0000910A
	ds_write_b32 v10, v146 offset:35328                        // 0000000168D4: D81A8A00 0000920A
	ds_write_b32 v10, v147 offset:36352                        // 0000000168DC: D81A8E00 0000930A
	v_add_f32_e32 v224, v224, v192                             // 0000000168E4: 03C181E0
	v_add_f32_e32 v225, v225, v193                             // 0000000168E8: 03C383E1
	v_add_f32_e32 v226, v226, v194                             // 0000000168EC: 03C585E2
	v_add_f32_e32 v227, v227, v195                             // 0000000168F0: 03C787E3
	v_add_f32_e32 v228, v228, v196                             // 0000000168F4: 03C989E4
	v_add_f32_e32 v229, v229, v197                             // 0000000168F8: 03CB8BE5
	v_add_f32_e32 v230, v230, v198                             // 0000000168FC: 03CD8DE6
	v_add_f32_e32 v231, v231, v199                             // 000000016900: 03CF8FE7
	v_rcp_f32_e32 v46, v48                                     // 000000016904: 7E5C4530
	s_waitcnt lgkmcnt(0)                                       // 000000016908: BF8CC07F
	s_barrier                                                  // 00000001690C: BF8A0000
	ds_read_b64 v[144:145], v9 offset:33280                    // 000000016910: D8EC8200 90000009
	ds_read_b64 v[146:147], v9 offset:33408                    // 000000016918: D8EC8280 92000009
	ds_read_b64 v[148:149], v9 offset:34304                    // 000000016920: D8EC8600 94000009
	ds_read_b64 v[150:151], v9 offset:34432                    // 000000016928: D8EC8680 96000009
	ds_read_b64 v[152:153], v9 offset:35328                    // 000000016930: D8EC8A00 98000009
	ds_read_b64 v[154:155], v9 offset:35456                    // 000000016938: D8EC8A80 9A000009
	ds_read_b64 v[156:157], v9 offset:36352                    // 000000016940: D8EC8E00 9C000009
	ds_read_b64 v[158:159], v9 offset:36480                    // 000000016948: D8EC8E80 9E000009
	s_waitcnt vmcnt(0)                                         // 000000016950: BF8C0F70
	s_barrier                                                  // 000000016954: BF8A0000
	v_mfma_f32_16x16x32_fp8_fp8 v[176:179], a[64:65], v[112:113], 0// 000000016958: D3F300B0 0A02E140
	v_mfma_f32_16x16x32_fp8_fp8 v[176:179], a[66:67], v[114:115], v[176:179]// 000000016960: D3F300B0 0EC2E542
	v_mfma_f32_16x16x32_fp8_fp8 v[176:179], a[68:69], v[116:117], v[176:179]// 000000016968: D3F300B0 0EC2E944
	v_mfma_f32_16x16x32_fp8_fp8 v[176:179], a[70:71], v[118:119], v[176:179]// 000000016970: D3F300B0 0EC2ED46
	v_mfma_f32_16x16x32_fp8_fp8 v[176:179], a[72:73], v[120:121], v[176:179]// 000000016978: D3F300B0 0EC2F148
	v_mfma_f32_16x16x32_fp8_fp8 v[176:179], a[74:75], v[122:123], v[176:179]// 000000016980: D3F300B0 0EC2F54A
	v_mfma_f32_16x16x32_fp8_fp8 v[176:179], a[76:77], v[124:125], v[176:179]// 000000016988: D3F300B0 0EC2F94C
	v_mfma_f32_16x16x32_fp8_fp8 v[176:179], a[78:79], v[126:127], v[176:179]// 000000016990: D3F300B0 0EC2FD4E
	v_mfma_f32_16x16x32_fp8_fp8 v[180:183], a[80:81], v[112:113], 0// 000000016998: D3F300B4 0A02E150
	v_mfma_f32_16x16x32_fp8_fp8 v[180:183], a[82:83], v[114:115], v[180:183]// 0000000169A0: D3F300B4 0ED2E552
	v_mfma_f32_16x16x32_fp8_fp8 v[180:183], a[84:85], v[116:117], v[180:183]// 0000000169A8: D3F300B4 0ED2E954
	v_mfma_f32_16x16x32_fp8_fp8 v[180:183], a[86:87], v[118:119], v[180:183]// 0000000169B0: D3F300B4 0ED2ED56
	v_mfma_f32_16x16x32_fp8_fp8 v[180:183], a[88:89], v[120:121], v[180:183]// 0000000169B8: D3F300B4 0ED2F158
	v_mfma_f32_16x16x32_fp8_fp8 v[180:183], a[90:91], v[122:123], v[180:183]// 0000000169C0: D3F300B4 0ED2F55A
	v_mfma_f32_16x16x32_fp8_fp8 v[180:183], a[92:93], v[124:125], v[180:183]// 0000000169C8: D3F300B4 0ED2F95C
	v_mfma_f32_16x16x32_fp8_fp8 v[180:183], a[94:95], v[126:127], v[180:183]// 0000000169D0: D3F300B4 0ED2FD5E
	v_mfma_f32_16x16x32_fp8_fp8 v[184:187], a[64:65], v[128:129], 0// 0000000169D8: D3F300B8 0A030140
	v_mfma_f32_16x16x32_fp8_fp8 v[184:187], a[66:67], v[130:131], v[184:187]// 0000000169E0: D3F300B8 0EE30542
	v_mfma_f32_16x16x32_fp8_fp8 v[184:187], a[68:69], v[132:133], v[184:187]// 0000000169E8: D3F300B8 0EE30944
	v_mfma_f32_16x16x32_fp8_fp8 v[184:187], a[70:71], v[134:135], v[184:187]// 0000000169F0: D3F300B8 0EE30D46
	v_mfma_f32_16x16x32_fp8_fp8 v[184:187], a[72:73], v[136:137], v[184:187]// 0000000169F8: D3F300B8 0EE31148
	v_mfma_f32_16x16x32_fp8_fp8 v[184:187], a[74:75], v[138:139], v[184:187]// 000000016A00: D3F300B8 0EE3154A
	v_mfma_f32_16x16x32_fp8_fp8 v[184:187], a[76:77], v[140:141], v[184:187]// 000000016A08: D3F300B8 0EE3194C
	v_mfma_f32_16x16x32_fp8_fp8 v[184:187], a[78:79], v[142:143], v[184:187]// 000000016A10: D3F300B8 0EE31D4E
	v_mfma_f32_16x16x32_fp8_fp8 v[188:191], a[80:81], v[128:129], 0// 000000016A18: D3F300BC 0A030150
	v_mfma_f32_16x16x32_fp8_fp8 v[188:191], a[82:83], v[130:131], v[188:191]// 000000016A20: D3F300BC 0EF30552
	v_mfma_f32_16x16x32_fp8_fp8 v[188:191], a[84:85], v[132:133], v[188:191]// 000000016A28: D3F300BC 0EF30954
	v_mfma_f32_16x16x32_fp8_fp8 v[188:191], a[86:87], v[134:135], v[188:191]// 000000016A30: D3F300BC 0EF30D56
	v_mfma_f32_16x16x32_fp8_fp8 v[188:191], a[88:89], v[136:137], v[188:191]// 000000016A38: D3F300BC 0EF31158
	v_mfma_f32_16x16x32_fp8_fp8 v[188:191], a[90:91], v[138:139], v[188:191]// 000000016A40: D3F300BC 0EF3155A
	v_mfma_f32_16x16x32_fp8_fp8 v[188:191], a[92:93], v[140:141], v[188:191]// 000000016A48: D3F300BC 0EF3195C
	v_mfma_f32_16x16x32_fp8_fp8 v[188:191], a[94:95], v[142:143], v[188:191]// 000000016A50: D3F300BC 0EF31D5E
	v_mfma_f32_16x16x32_fp8_fp8 v[192:195], a[64:65], v[144:145], 0// 000000016A58: D3F300C0 0A032140
	v_mfma_f32_16x16x32_fp8_fp8 v[192:195], a[66:67], v[146:147], v[192:195]// 000000016A60: D3F300C0 0F032542
	v_mfma_f32_16x16x32_fp8_fp8 v[192:195], a[68:69], v[148:149], v[192:195]// 000000016A68: D3F300C0 0F032944
	v_mfma_f32_16x16x32_fp8_fp8 v[192:195], a[70:71], v[150:151], v[192:195]// 000000016A70: D3F300C0 0F032D46
	v_mfma_f32_16x16x32_fp8_fp8 v[192:195], a[72:73], v[152:153], v[192:195]// 000000016A78: D3F300C0 0F033148
	v_mfma_f32_16x16x32_fp8_fp8 v[192:195], a[74:75], v[154:155], v[192:195]// 000000016A80: D3F300C0 0F03354A
	v_mfma_f32_16x16x32_fp8_fp8 v[192:195], a[76:77], v[156:157], v[192:195]// 000000016A88: D3F300C0 0F03394C
	v_mfma_f32_16x16x32_fp8_fp8 v[192:195], a[78:79], v[158:159], v[192:195]// 000000016A90: D3F300C0 0F033D4E
	v_mfma_f32_16x16x32_fp8_fp8 v[196:199], a[80:81], v[144:145], 0// 000000016A98: D3F300C4 0A032150
	v_mfma_f32_16x16x32_fp8_fp8 v[196:199], a[82:83], v[146:147], v[196:199]// 000000016AA0: D3F300C4 0F132552
	v_mfma_f32_16x16x32_fp8_fp8 v[196:199], a[84:85], v[148:149], v[196:199]// 000000016AA8: D3F300C4 0F132954
	v_mfma_f32_16x16x32_fp8_fp8 v[196:199], a[86:87], v[150:151], v[196:199]// 000000016AB0: D3F300C4 0F132D56
	v_mfma_f32_16x16x32_fp8_fp8 v[196:199], a[88:89], v[152:153], v[196:199]// 000000016AB8: D3F300C4 0F133158
	v_mfma_f32_16x16x32_fp8_fp8 v[196:199], a[90:91], v[154:155], v[196:199]// 000000016AC0: D3F300C4 0F13355A
	v_mfma_f32_16x16x32_fp8_fp8 v[196:199], a[92:93], v[156:157], v[196:199]// 000000016AC8: D3F300C4 0F13395C
	v_mfma_f32_16x16x32_fp8_fp8 v[196:199], a[94:95], v[158:159], v[196:199]// 000000016AD0: D3F300C4 0F133D5E
	s_nop 4                                                    // 000000016AD8: BF800004
	s_branch label_5976                                        // 000000016ADC: BF82073E

0000000000016ae0 <label_5238>:
	s_waitcnt vmcnt(8) lgkmcnt(0)                              // 000000016AE0: BF8C0078
	s_barrier                                                  // 000000016AE4: BF8A0000
	v_mfma_f32_16x16x32_fp8_fp8 v[112:115], a[32:33], v[80:81], 0// 000000016AE8: D3F30070 0A02A120
	v_mfma_f32_16x16x32_fp8_fp8 v[112:115], a[34:35], v[82:83], v[112:115]// 000000016AF0: D3F30070 0DC2A522
	v_mfma_f32_16x16x32_fp8_fp8 v[112:115], a[36:37], v[84:85], v[112:115]// 000000016AF8: D3F30070 0DC2A924
	v_mfma_f32_16x16x32_fp8_fp8 v[112:115], a[38:39], v[86:87], v[112:115]// 000000016B00: D3F30070 0DC2AD26
	v_mfma_f32_16x16x32_fp8_fp8 v[116:119], a[40:41], v[80:81], 0// 000000016B08: D3F30074 0A02A128
	v_mfma_f32_16x16x32_fp8_fp8 v[116:119], a[42:43], v[82:83], v[116:119]// 000000016B10: D3F30074 0DD2A52A
	v_mfma_f32_16x16x32_fp8_fp8 v[116:119], a[44:45], v[84:85], v[116:119]// 000000016B18: D3F30074 0DD2A92C
	v_mfma_f32_16x16x32_fp8_fp8 v[116:119], a[46:47], v[86:87], v[116:119]// 000000016B20: D3F30074 0DD2AD2E
	v_mfma_f32_16x16x32_fp8_fp8 v[120:123], a[48:49], v[80:81], 0// 000000016B28: D3F30078 0A02A130
	v_mfma_f32_16x16x32_fp8_fp8 v[120:123], a[50:51], v[82:83], v[120:123]// 000000016B30: D3F30078 0DE2A532
	v_mfma_f32_16x16x32_fp8_fp8 v[120:123], a[52:53], v[84:85], v[120:123]// 000000016B38: D3F30078 0DE2A934
	v_mfma_f32_16x16x32_fp8_fp8 v[120:123], a[54:55], v[86:87], v[120:123]// 000000016B40: D3F30078 0DE2AD36
	v_mfma_f32_16x16x32_fp8_fp8 v[124:127], a[56:57], v[80:81], 0// 000000016B48: D3F3007C 0A02A138
	v_mfma_f32_16x16x32_fp8_fp8 v[124:127], a[58:59], v[82:83], v[124:127]// 000000016B50: D3F3007C 0DF2A53A
	v_mfma_f32_16x16x32_fp8_fp8 v[124:127], a[60:61], v[84:85], v[124:127]// 000000016B58: D3F3007C 0DF2A93C
	v_mfma_f32_16x16x32_fp8_fp8 v[124:127], a[62:63], v[86:87], v[124:127]// 000000016B60: D3F3007C 0DF2AD3E
	v_mfma_f32_16x16x32_fp8_fp8 v[128:131], a[32:33], v[88:89], 0// 000000016B68: D3F30080 0A02B120
	v_mfma_f32_16x16x32_fp8_fp8 v[128:131], a[34:35], v[90:91], v[128:131]// 000000016B70: D3F30080 0E02B522
	v_mfma_f32_16x16x32_fp8_fp8 v[128:131], a[36:37], v[92:93], v[128:131]// 000000016B78: D3F30080 0E02B924
	v_mfma_f32_16x16x32_fp8_fp8 v[128:131], a[38:39], v[94:95], v[128:131]// 000000016B80: D3F30080 0E02BD26
	v_mfma_f32_16x16x32_fp8_fp8 v[132:135], a[40:41], v[88:89], 0// 000000016B88: D3F30084 0A02B128
	v_mfma_f32_16x16x32_fp8_fp8 v[132:135], a[42:43], v[90:91], v[132:135]// 000000016B90: D3F30084 0E12B52A
	v_mfma_f32_16x16x32_fp8_fp8 v[132:135], a[44:45], v[92:93], v[132:135]// 000000016B98: D3F30084 0E12B92C
	v_mfma_f32_16x16x32_fp8_fp8 v[132:135], a[46:47], v[94:95], v[132:135]// 000000016BA0: D3F30084 0E12BD2E
	v_mfma_f32_16x16x32_fp8_fp8 v[136:139], a[48:49], v[88:89], 0// 000000016BA8: D3F30088 0A02B130
	v_mfma_f32_16x16x32_fp8_fp8 v[136:139], a[50:51], v[90:91], v[136:139]// 000000016BB0: D3F30088 0E22B532
	v_mfma_f32_16x16x32_fp8_fp8 v[136:139], a[52:53], v[92:93], v[136:139]// 000000016BB8: D3F30088 0E22B934
	v_mfma_f32_16x16x32_fp8_fp8 v[136:139], a[54:55], v[94:95], v[136:139]// 000000016BC0: D3F30088 0E22BD36
	v_mfma_f32_16x16x32_fp8_fp8 v[140:143], a[56:57], v[88:89], 0// 000000016BC8: D3F3008C 0A02B138
	v_mfma_f32_16x16x32_fp8_fp8 v[140:143], a[58:59], v[90:91], v[140:143]// 000000016BD0: D3F3008C 0E32B53A
	v_mfma_f32_16x16x32_fp8_fp8 v[140:143], a[60:61], v[92:93], v[140:143]// 000000016BD8: D3F3008C 0E32B93C
	v_mfma_f32_16x16x32_fp8_fp8 v[140:143], a[62:63], v[94:95], v[140:143]// 000000016BE0: D3F3008C 0E32BD3E
	v_mfma_f32_16x16x32_fp8_fp8 v[144:147], a[32:33], v[96:97], 0// 000000016BE8: D3F30090 0A02C120
	v_mfma_f32_16x16x32_fp8_fp8 v[144:147], a[34:35], v[98:99], v[144:147]// 000000016BF0: D3F30090 0E42C522
	v_mfma_f32_16x16x32_fp8_fp8 v[144:147], a[36:37], v[100:101], v[144:147]// 000000016BF8: D3F30090 0E42C924
	v_mfma_f32_16x16x32_fp8_fp8 v[144:147], a[38:39], v[102:103], v[144:147]// 000000016C00: D3F30090 0E42CD26
	v_mfma_f32_16x16x32_fp8_fp8 v[148:151], a[40:41], v[96:97], 0// 000000016C08: D3F30094 0A02C128
	v_mfma_f32_16x16x32_fp8_fp8 v[148:151], a[42:43], v[98:99], v[148:151]// 000000016C10: D3F30094 0E52C52A
	v_mfma_f32_16x16x32_fp8_fp8 v[148:151], a[44:45], v[100:101], v[148:151]// 000000016C18: D3F30094 0E52C92C
	v_mfma_f32_16x16x32_fp8_fp8 v[148:151], a[46:47], v[102:103], v[148:151]// 000000016C20: D3F30094 0E52CD2E
	v_mfma_f32_16x16x32_fp8_fp8 v[152:155], a[48:49], v[96:97], 0// 000000016C28: D3F30098 0A02C130
	v_mfma_f32_16x16x32_fp8_fp8 v[152:155], a[50:51], v[98:99], v[152:155]// 000000016C30: D3F30098 0E62C532
	v_mfma_f32_16x16x32_fp8_fp8 v[152:155], a[52:53], v[100:101], v[152:155]// 000000016C38: D3F30098 0E62C934
	v_mfma_f32_16x16x32_fp8_fp8 v[152:155], a[54:55], v[102:103], v[152:155]// 000000016C40: D3F30098 0E62CD36
	v_mfma_f32_16x16x32_fp8_fp8 v[156:159], a[56:57], v[96:97], 0// 000000016C48: D3F3009C 0A02C138
	v_mfma_f32_16x16x32_fp8_fp8 v[156:159], a[58:59], v[98:99], v[156:159]// 000000016C50: D3F3009C 0E72C53A
	v_mfma_f32_16x16x32_fp8_fp8 v[156:159], a[60:61], v[100:101], v[156:159]// 000000016C58: D3F3009C 0E72C93C
	v_mfma_f32_16x16x32_fp8_fp8 v[156:159], a[62:63], v[102:103], v[156:159]// 000000016C60: D3F3009C 0E72CD3E
	v_mov_b32_dpp v64, v43 row_shr:4 row_mask:0xf bank_mask:0xf// 000000016C68: 7E8002FA FF01142B
	v_mov_b32_dpp v65, v43 row_shl:4 row_mask:0xf bank_mask:0xf// 000000016C70: 7E8202FA FF01042B
	v_cndmask_b32_e64 v248, v43, v64, s[44:45]                 // 000000016C78: D10000F8 00B2812B
	v_cndmask_b32_e64 v249, v65, v43, s[44:45]                 // 000000016C80: D10000F9 00B25741
	v_mov_b32_dpp v64, v248 row_shr:8 row_mask:0xf bank_mask:0xf// 000000016C88: 7E8002FA FF0118F8
	v_mov_b32_dpp v65, v248 row_shl:8 row_mask:0xf bank_mask:0xf// 000000016C90: 7E8202FA FF0108F8
	v_mov_b32_dpp v66, v249 row_shr:8 row_mask:0xf bank_mask:0xf// 000000016C98: 7E8402FA FF0118F9
	v_mov_b32_dpp v67, v249 row_shl:8 row_mask:0xf bank_mask:0xf// 000000016CA0: 7E8602FA FF0108F9
	v_mov_b32_e32 v68, v248                                    // 000000016CA8: 7E8803F8
	v_mov_b32_e32 v69, v249                                    // 000000016CAC: 7E8A03F9
	v_cndmask_b32_e64 v248, v68, v64, s[42:43]                 // 000000016CB0: D10000F8 00AA8144
	v_cndmask_b32_e64 v250, v68, v65, s[78:79]                 // 000000016CB8: D10000FA 013A8344
	v_cndmask_b32_e64 v249, v69, v66, s[42:43]                 // 000000016CC0: D10000F9 00AA8545
	v_cndmask_b32_e64 v251, v69, v67, s[78:79]                 // 000000016CC8: D10000FB 013A8745
	v_mov_b32_dpp v64, v58 row_shr:4 row_mask:0xf bank_mask:0xf// 000000016CD0: 7E8002FA FF01143A
	v_mov_b32_dpp v65, v58 row_shl:4 row_mask:0xf bank_mask:0xf// 000000016CD8: 7E8202FA FF01043A
	v_cndmask_b32_e64 v252, v58, v64, s[44:45]                 // 000000016CE0: D10000FC 00B2813A
	v_cndmask_b32_e64 v253, v65, v58, s[44:45]                 // 000000016CE8: D10000FD 00B27541
	v_mov_b32_dpp v64, v252 row_shr:8 row_mask:0xf bank_mask:0xf// 000000016CF0: 7E8002FA FF0118FC
	v_mov_b32_dpp v65, v252 row_shl:8 row_mask:0xf bank_mask:0xf// 000000016CF8: 7E8202FA FF0108FC
	v_mov_b32_dpp v66, v253 row_shr:8 row_mask:0xf bank_mask:0xf// 000000016D00: 7E8402FA FF0118FD
	v_mov_b32_dpp v67, v253 row_shl:8 row_mask:0xf bank_mask:0xf// 000000016D08: 7E8602FA FF0108FD
	v_mov_b32_e32 v68, v252                                    // 000000016D10: 7E8803FC
	v_mov_b32_e32 v69, v253                                    // 000000016D14: 7E8A03FD
	v_cndmask_b32_e64 v252, v68, v64, s[42:43]                 // 000000016D18: D10000FC 00AA8144
	v_cndmask_b32_e64 v254, v68, v65, s[78:79]                 // 000000016D20: D10000FE 013A8344
	v_cndmask_b32_e64 v253, v69, v66, s[42:43]                 // 000000016D28: D10000FD 00AA8545
	v_cndmask_b32_e64 v255, v69, v67, s[78:79]                 // 000000016D30: D10000FF 013A8745
	v_mul_f32_e32 v112, v18, v112                              // 000000016D38: 0AE0E112
	v_mul_f32_e32 v113, v18, v113                              // 000000016D3C: 0AE2E312
	v_mul_f32_e32 v114, v18, v114                              // 000000016D40: 0AE4E512
	v_mul_f32_e32 v115, v18, v115                              // 000000016D44: 0AE6E712
	v_mul_f32_e32 v116, v18, v116                              // 000000016D48: 0AE8E912
	v_mul_f32_e32 v117, v18, v117                              // 000000016D4C: 0AEAEB12
	v_mul_f32_e32 v118, v18, v118                              // 000000016D50: 0AECED12
	v_mul_f32_e32 v119, v18, v119                              // 000000016D54: 0AEEEF12
	v_mul_f32_e32 v120, v18, v120                              // 000000016D58: 0AF0F112
	v_mul_f32_e32 v121, v18, v121                              // 000000016D5C: 0AF2F312
	v_mul_f32_e32 v122, v18, v122                              // 000000016D60: 0AF4F512
	v_mul_f32_e32 v123, v18, v123                              // 000000016D64: 0AF6F712
	v_mul_f32_e32 v124, v18, v124                              // 000000016D68: 0AF8F912
	v_mul_f32_e32 v125, v18, v125                              // 000000016D6C: 0AFAFB12
	v_mul_f32_e32 v126, v18, v126                              // 000000016D70: 0AFCFD12
	v_mul_f32_e32 v127, v18, v127                              // 000000016D74: 0AFEFF12
	v_mul_f32_dpp v112, v248, v112 quad_perm:[0,0,0,0] row_mask:0xf bank_mask:0xf// 000000016D78: 0AE0E0FA FF0000F8
	v_mul_f32_dpp v113, v248, v113 quad_perm:[1,1,1,1] row_mask:0xf bank_mask:0xf// 000000016D80: 0AE2E2FA FF0055F8
	v_mul_f32_dpp v114, v248, v114 quad_perm:[2,2,2,2] row_mask:0xf bank_mask:0xf// 000000016D88: 0AE4E4FA FF00AAF8
	v_mul_f32_dpp v115, v248, v115 quad_perm:[3,3,3,3] row_mask:0xf bank_mask:0xf// 000000016D90: 0AE6E6FA FF00FFF8
	v_mul_f32_dpp v116, v249, v116 quad_perm:[0,0,0,0] row_mask:0xf bank_mask:0xf// 000000016D98: 0AE8E8FA FF0000F9
	v_mul_f32_dpp v117, v249, v117 quad_perm:[1,1,1,1] row_mask:0xf bank_mask:0xf// 000000016DA0: 0AEAEAFA FF0055F9
	v_mul_f32_dpp v118, v249, v118 quad_perm:[2,2,2,2] row_mask:0xf bank_mask:0xf// 000000016DA8: 0AECECFA FF00AAF9
	v_mul_f32_dpp v119, v249, v119 quad_perm:[3,3,3,3] row_mask:0xf bank_mask:0xf// 000000016DB0: 0AEEEEFA FF00FFF9
	v_mul_f32_dpp v120, v250, v120 quad_perm:[0,0,0,0] row_mask:0xf bank_mask:0xf// 000000016DB8: 0AF0F0FA FF0000FA
	v_mul_f32_dpp v121, v250, v121 quad_perm:[1,1,1,1] row_mask:0xf bank_mask:0xf// 000000016DC0: 0AF2F2FA FF0055FA
	v_mul_f32_dpp v122, v250, v122 quad_perm:[2,2,2,2] row_mask:0xf bank_mask:0xf// 000000016DC8: 0AF4F4FA FF00AAFA
	v_mul_f32_dpp v123, v250, v123 quad_perm:[3,3,3,3] row_mask:0xf bank_mask:0xf// 000000016DD0: 0AF6F6FA FF00FFFA
	v_mul_f32_dpp v124, v251, v124 quad_perm:[0,0,0,0] row_mask:0xf bank_mask:0xf// 000000016DD8: 0AF8F8FA FF0000FB
	v_mul_f32_dpp v125, v251, v125 quad_perm:[1,1,1,1] row_mask:0xf bank_mask:0xf// 000000016DE0: 0AFAFAFA FF0055FB
	v_mul_f32_dpp v126, v251, v126 quad_perm:[2,2,2,2] row_mask:0xf bank_mask:0xf// 000000016DE8: 0AFCFCFA FF00AAFB
	v_mul_f32_dpp v127, v251, v127 quad_perm:[3,3,3,3] row_mask:0xf bank_mask:0xf// 000000016DF0: 0AFEFEFA FF00FFFB
	s_and_b32 s60, s72, 0xff                                   // 000000016DF8: 863CFF48 000000FF
	v_mov_b32_e32 v65, s60                                     // 000000016E00: 7E82023C
	v_lshrrev_b32_e32 v240, 4, v0                              // 000000016E04: 21E00084
	v_mul_i32_i24_e32 v240, 4, v240                            // 000000016E08: 0DE1E084
	s_mul_i32 s60, s7, 16                                      // 000000016E0C: 923C9007
	v_add_u32_e32 v240, s60, v240                              // 000000016E10: 69E1E03C
	v_add_u32_e32 v241, 1, v240                                // 000000016E14: 69E3E081
	v_add_u32_e32 v242, 2, v240                                // 000000016E18: 69E5E082
	v_add_u32_e32 v243, 3, v240                                // 000000016E1C: 69E7E083
	v_mov_b32_e32 v64, 0xff800000                              // 000000016E20: 7E8002FF FF800000
	v_cmp_lt_u32_e64 s[40:41], v240, v65                       // 000000016E28: D0C90028 000283F0
	v_add_u32_e32 v240, 64, v240                               // 000000016E30: 69E1E0C0
	s_nop 0                                                    // 000000016E34: BF800000
	v_cndmask_b32_e64 v112, v64, v112, s[40:41]                // 000000016E38: D1000070 00A2E140
	v_cmp_lt_u32_e64 s[40:41], v241, v65                       // 000000016E40: D0C90028 000283F1
	v_add_u32_e32 v241, 64, v241                               // 000000016E48: 69E3E2C0
	s_nop 0                                                    // 000000016E4C: BF800000
	v_cndmask_b32_e64 v113, v64, v113, s[40:41]                // 000000016E50: D1000071 00A2E340
	v_cmp_lt_u32_e64 s[40:41], v242, v65                       // 000000016E58: D0C90028 000283F2
	v_add_u32_e32 v242, 64, v242                               // 000000016E60: 69E5E4C0
	s_nop 0                                                    // 000000016E64: BF800000
	v_cndmask_b32_e64 v114, v64, v114, s[40:41]                // 000000016E68: D1000072 00A2E540
	v_cmp_lt_u32_e64 s[40:41], v243, v65                       // 000000016E70: D0C90028 000283F3
	v_add_u32_e32 v243, 64, v243                               // 000000016E78: 69E7E6C0
	s_nop 0                                                    // 000000016E7C: BF800000
	v_cndmask_b32_e64 v115, v64, v115, s[40:41]                // 000000016E80: D1000073 00A2E740
	v_cmp_lt_u32_e64 s[40:41], v240, v65                       // 000000016E88: D0C90028 000283F0
	v_add_u32_e32 v240, 64, v240                               // 000000016E90: 69E1E0C0
	s_nop 0                                                    // 000000016E94: BF800000
	v_cndmask_b32_e64 v116, v64, v116, s[40:41]                // 000000016E98: D1000074 00A2E940
	v_cmp_lt_u32_e64 s[40:41], v241, v65                       // 000000016EA0: D0C90028 000283F1
	v_add_u32_e32 v241, 64, v241                               // 000000016EA8: 69E3E2C0
	s_nop 0                                                    // 000000016EAC: BF800000
	v_cndmask_b32_e64 v117, v64, v117, s[40:41]                // 000000016EB0: D1000075 00A2EB40
	v_cmp_lt_u32_e64 s[40:41], v242, v65                       // 000000016EB8: D0C90028 000283F2
	v_add_u32_e32 v242, 64, v242                               // 000000016EC0: 69E5E4C0
	s_nop 0                                                    // 000000016EC4: BF800000
	v_cndmask_b32_e64 v118, v64, v118, s[40:41]                // 000000016EC8: D1000076 00A2ED40
	v_cmp_lt_u32_e64 s[40:41], v243, v65                       // 000000016ED0: D0C90028 000283F3
	v_add_u32_e32 v243, 64, v243                               // 000000016ED8: 69E7E6C0
	s_nop 0                                                    // 000000016EDC: BF800000
	v_cndmask_b32_e64 v119, v64, v119, s[40:41]                // 000000016EE0: D1000077 00A2EF40
	v_cmp_lt_u32_e64 s[40:41], v240, v65                       // 000000016EE8: D0C90028 000283F0
	v_add_u32_e32 v240, 64, v240                               // 000000016EF0: 69E1E0C0
	s_nop 0                                                    // 000000016EF4: BF800000
	v_cndmask_b32_e64 v120, v64, v120, s[40:41]                // 000000016EF8: D1000078 00A2F140
	v_cmp_lt_u32_e64 s[40:41], v241, v65                       // 000000016F00: D0C90028 000283F1
	v_add_u32_e32 v241, 64, v241                               // 000000016F08: 69E3E2C0
	s_nop 0                                                    // 000000016F0C: BF800000
	v_cndmask_b32_e64 v121, v64, v121, s[40:41]                // 000000016F10: D1000079 00A2F340
	v_cmp_lt_u32_e64 s[40:41], v242, v65                       // 000000016F18: D0C90028 000283F2
	v_add_u32_e32 v242, 64, v242                               // 000000016F20: 69E5E4C0
	s_nop 0                                                    // 000000016F24: BF800000
	v_cndmask_b32_e64 v122, v64, v122, s[40:41]                // 000000016F28: D100007A 00A2F540
	v_cmp_lt_u32_e64 s[40:41], v243, v65                       // 000000016F30: D0C90028 000283F3
	v_add_u32_e32 v243, 64, v243                               // 000000016F38: 69E7E6C0
	s_nop 0                                                    // 000000016F3C: BF800000
	v_cndmask_b32_e64 v123, v64, v123, s[40:41]                // 000000016F40: D100007B 00A2F740
	v_cmp_lt_u32_e64 s[40:41], v240, v65                       // 000000016F48: D0C90028 000283F0
	v_add_u32_e32 v240, 64, v240                               // 000000016F50: 69E1E0C0
	s_nop 0                                                    // 000000016F54: BF800000
	v_cndmask_b32_e64 v124, v64, v124, s[40:41]                // 000000016F58: D100007C 00A2F940
	v_cmp_lt_u32_e64 s[40:41], v241, v65                       // 000000016F60: D0C90028 000283F1
	v_add_u32_e32 v241, 64, v241                               // 000000016F68: 69E3E2C0
	s_nop 0                                                    // 000000016F6C: BF800000
	v_cndmask_b32_e64 v125, v64, v125, s[40:41]                // 000000016F70: D100007D 00A2FB40
	v_cmp_lt_u32_e64 s[40:41], v242, v65                       // 000000016F78: D0C90028 000283F2
	v_add_u32_e32 v242, 64, v242                               // 000000016F80: 69E5E4C0
	s_nop 0                                                    // 000000016F84: BF800000
	v_cndmask_b32_e64 v126, v64, v126, s[40:41]                // 000000016F88: D100007E 00A2FD40
	v_cmp_lt_u32_e64 s[40:41], v243, v65                       // 000000016F90: D0C90028 000283F3
	v_add_u32_e32 v243, 64, v243                               // 000000016F98: 69E7E6C0
	s_nop 0                                                    // 000000016F9C: BF800000
	v_cndmask_b32_e64 v127, v64, v127, s[40:41]                // 000000016FA0: D100007F 00A2FF40
	v_mov_b32_e32 v48, v112                                    // 000000016FA8: 7E600370
	v_max3_f32 v48, v112, v113, v48                            // 000000016FAC: D1D30030 04C2E370
	v_max3_f32 v48, v114, v115, v48                            // 000000016FB4: D1D30030 04C2E772
	v_max3_f32 v48, v116, v117, v48                            // 000000016FBC: D1D30030 04C2EB74
	v_max3_f32 v48, v118, v119, v48                            // 000000016FC4: D1D30030 04C2EF76
	v_max3_f32 v48, v120, v121, v48                            // 000000016FCC: D1D30030 04C2F378
	v_max3_f32 v48, v122, v123, v48                            // 000000016FD4: D1D30030 04C2F77A
	v_max3_f32 v48, v124, v125, v48                            // 000000016FDC: D1D30030 04C2FB7C
	v_max3_f32 v48, v126, v127, v48                            // 000000016FE4: D1D30030 04C2FF7E
	ds_write_b32 v8, v48 offset:16896                          // 000000016FEC: D81A4200 00003008
	v_mul_u32_u24_dpp v64, v16, v54 row_newbcast:1 row_mask:0xf bank_mask:0xf// 000000016FF4: 10806CFA FF015110
	v_mul_u32_u24_dpp v65, v16, v54 row_newbcast:5 row_mask:0xf bank_mask:0xf// 000000016FFC: 10826CFA FF015510
	v_mul_u32_u24_dpp v66, v16, v54 row_newbcast:9 row_mask:0xf bank_mask:0xf// 000000017004: 10846CFA FF015910
	v_mul_u32_u24_dpp v67, v16, v54 row_newbcast:13 row_mask:0xf bank_mask:0xf// 00000001700C: 10866CFA FF015D10
	v_add_u32_e32 v30, v64, v6                                 // 000000017014: 683C0D40
	v_add_u32_e32 v31, v65, v6                                 // 000000017018: 683E0D41
	v_add_u32_e32 v32, v66, v6                                 // 00000001701C: 68400D42
	v_add_u32_e32 v33, v67, v6                                 // 000000017020: 68420D43
	v_mul_f32_e32 v208, v49, v208                              // 000000017024: 0BA1A131
	v_mul_f32_e32 v209, v49, v209                              // 000000017028: 0BA3A331
	v_mul_f32_e32 v210, v49, v210                              // 00000001702C: 0BA5A531
	v_mul_f32_e32 v211, v49, v211                              // 000000017030: 0BA7A731
	v_mul_f32_e32 v212, v49, v212                              // 000000017034: 0BA9A931
	v_mul_f32_e32 v213, v49, v213                              // 000000017038: 0BABAB31
	v_mul_f32_e32 v214, v49, v214                              // 00000001703C: 0BADAD31
	v_mul_f32_e32 v215, v49, v215                              // 000000017040: 0BAFAF31
	s_waitcnt lgkmcnt(0)                                       // 000000017044: BF8CC07F
	s_barrier                                                  // 000000017048: BF8A0000
	ds_read_b32 v64, v7 offset:16896                           // 00000001704C: D86C4200 40000007
	ds_read_b32 v65, v7 offset:16960                           // 000000017054: D86C4240 41000007
	ds_read_b32 v66, v7 offset:17024                           // 00000001705C: D86C4280 42000007
	ds_read_b32 v67, v7 offset:17088                           // 000000017064: D86C42C0 43000007
	ds_read_b32 v68, v7 offset:17152                           // 00000001706C: D86C4300 44000007
	ds_read_b32 v69, v7 offset:17216                           // 000000017074: D86C4340 45000007
	ds_read_b32 v70, v7 offset:17280                           // 00000001707C: D86C4380 46000007
	ds_read_b32 v71, v7 offset:17344                           // 000000017084: D86C43C0 47000007
	ds_read_b32 v72, v7 offset:17408                           // 00000001708C: D86C4400 48000007
	ds_read_b32 v73, v7 offset:17472                           // 000000017094: D86C4440 49000007
	ds_read_b32 v74, v7 offset:17536                           // 00000001709C: D86C4480 4A000007
	ds_read_b32 v75, v7 offset:17600                           // 0000000170A4: D86C44C0 4B000007
	ds_read_b32 v76, v7 offset:17664                           // 0000000170AC: D86C4500 4C000007
	ds_read_b32 v77, v7 offset:17728                           // 0000000170B4: D86C4540 4D000007
	ds_read_b32 v78, v7 offset:17792                           // 0000000170BC: D86C4580 4E000007
	ds_read_b32 v79, v7 offset:17856                           // 0000000170C4: D86C45C0 4F000007
	v_mul_f32_e32 v176, v44, v176                              // 0000000170CC: 0B61612C
	v_mul_f32_e32 v177, v44, v177                              // 0000000170D0: 0B63632C
	v_mul_f32_e32 v178, v44, v178                              // 0000000170D4: 0B65652C
	v_mul_f32_e32 v179, v44, v179                              // 0000000170D8: 0B67672C
	v_mul_f32_e32 v180, v44, v180                              // 0000000170DC: 0B69692C
	v_mul_f32_e32 v181, v44, v181                              // 0000000170E0: 0B6B6B2C
	v_mul_f32_e32 v182, v44, v182                              // 0000000170E4: 0B6D6D2C
	v_mul_f32_e32 v183, v44, v183                              // 0000000170E8: 0B6F6F2C
	s_waitcnt lgkmcnt(0)                                       // 0000000170EC: BF8CC07F
	v_max3_f32 v48, v64, v65, v48                              // 0000000170F0: D1D30030 04C28340
	v_max3_f32 v48, v66, v67, v48                              // 0000000170F8: D1D30030 04C28742
	v_max3_f32 v48, v68, v69, v48                              // 000000017100: D1D30030 04C28B44
	v_max3_f32 v48, v70, v71, v48                              // 000000017108: D1D30030 04C28F46
	v_max3_f32 v48, v72, v73, v48                              // 000000017110: D1D30030 04C29348
	v_max3_f32 v48, v74, v75, v48                              // 000000017118: D1D30030 04C2974A
	v_max3_f32 v48, v76, v77, v48                              // 000000017120: D1D30030 04C29B4C
	v_max3_f32 v48, v78, v79, v48                              // 000000017128: D1D30030 04C29F4E
	v_mov_b32_e32 v64, 0xff800000                              // 000000017130: 7E8002FF FF800000
	v_cmp_eq_u32_e64 s[40:41], v64, v11                        // 000000017138: D0CA0028 00021740
	s_nop 1                                                    // 000000017140: BF800001
	v_max_f32_e32 v15, v48, v11                                // 000000017144: 161E1730
	v_mul_f32_e32 v53, s64, v15                                // 000000017148: 0A6A1E40
	v_fma_f32 v112, v112, s64, -v53                            // 00000001714C: D1CB0070 84D48170
	v_fma_f32 v113, v113, s64, -v53                            // 000000017154: D1CB0071 84D48171
	v_fma_f32 v114, v114, s64, -v53                            // 00000001715C: D1CB0072 84D48172
	v_fma_f32 v115, v115, s64, -v53                            // 000000017164: D1CB0073 84D48173
	v_fma_f32 v116, v116, s64, -v53                            // 00000001716C: D1CB0074 84D48174
	v_fma_f32 v117, v117, s64, -v53                            // 000000017174: D1CB0075 84D48175
	v_fma_f32 v118, v118, s64, -v53                            // 00000001717C: D1CB0076 84D48176
	v_fma_f32 v119, v119, s64, -v53                            // 000000017184: D1CB0077 84D48177
	v_fma_f32 v120, v120, s64, -v53                            // 00000001718C: D1CB0078 84D48178
	v_fma_f32 v121, v121, s64, -v53                            // 000000017194: D1CB0079 84D48179
	v_fma_f32 v122, v122, s64, -v53                            // 00000001719C: D1CB007A 84D4817A
	v_fma_f32 v123, v123, s64, -v53                            // 0000000171A4: D1CB007B 84D4817B
	v_fma_f32 v124, v124, s64, -v53                            // 0000000171AC: D1CB007C 84D4817C
	v_fma_f32 v125, v125, s64, -v53                            // 0000000171B4: D1CB007D 84D4817D
	v_fma_f32 v126, v126, s64, -v53                            // 0000000171BC: D1CB007E 84D4817E
	v_fma_f32 v127, v127, s64, -v53                            // 0000000171C4: D1CB007F 84D4817F
	v_exp_f32_e32 v112, v112                                   // 0000000171CC: 7EE04170
	v_exp_f32_e32 v113, v113                                   // 0000000171D0: 7EE24171
	v_exp_f32_e32 v114, v114                                   // 0000000171D4: 7EE44172
	v_exp_f32_e32 v115, v115                                   // 0000000171D8: 7EE64173
	v_exp_f32_e32 v116, v116                                   // 0000000171DC: 7EE84174
	v_exp_f32_e32 v117, v117                                   // 0000000171E0: 7EEA4175
	v_exp_f32_e32 v118, v118                                   // 0000000171E4: 7EEC4176
	v_exp_f32_e32 v119, v119                                   // 0000000171E8: 7EEE4177
	v_exp_f32_e32 v120, v120                                   // 0000000171EC: 7EF04178
	v_exp_f32_e32 v121, v121                                   // 0000000171F0: 7EF24179
	v_exp_f32_e32 v122, v122                                   // 0000000171F4: 7EF4417A
	v_exp_f32_e32 v123, v123                                   // 0000000171F8: 7EF6417B
	v_exp_f32_e32 v124, v124                                   // 0000000171FC: 7EF8417C
	v_exp_f32_e32 v125, v125                                   // 000000017200: 7EFA417D
	v_exp_f32_e32 v126, v126                                   // 000000017204: 7EFC417E
	v_exp_f32_e32 v127, v127                                   // 000000017208: 7EFE417F
	v_mul_f32_dpp v240, v252, v112 quad_perm:[0,0,0,0] row_mask:0xf bank_mask:0xf// 00000001720C: 0BE0E0FA FF0000FC
	v_mul_f32_dpp v241, v252, v113 quad_perm:[1,1,1,1] row_mask:0xf bank_mask:0xf// 000000017214: 0BE2E2FA FF0055FC
	v_mul_f32_dpp v242, v252, v114 quad_perm:[2,2,2,2] row_mask:0xf bank_mask:0xf// 00000001721C: 0BE4E4FA FF00AAFC
	v_mul_f32_dpp v243, v252, v115 quad_perm:[3,3,3,3] row_mask:0xf bank_mask:0xf// 000000017224: 0BE6E6FA FF00FFFC
	v_mul_f32_dpp v244, v253, v116 quad_perm:[0,0,0,0] row_mask:0xf bank_mask:0xf// 00000001722C: 0BE8E8FA FF0000FD
	v_mul_f32_dpp v245, v253, v117 quad_perm:[1,1,1,1] row_mask:0xf bank_mask:0xf// 000000017234: 0BEAEAFA FF0055FD
	v_mul_f32_dpp v246, v253, v118 quad_perm:[2,2,2,2] row_mask:0xf bank_mask:0xf// 00000001723C: 0BECECFA FF00AAFD
	v_mul_f32_dpp v247, v253, v119 quad_perm:[3,3,3,3] row_mask:0xf bank_mask:0xf// 000000017244: 0BEEEEFA FF00FFFD
	v_mul_f32_dpp v248, v254, v120 quad_perm:[0,0,0,0] row_mask:0xf bank_mask:0xf// 00000001724C: 0BF0F0FA FF0000FE
	v_mul_f32_dpp v249, v254, v121 quad_perm:[1,1,1,1] row_mask:0xf bank_mask:0xf// 000000017254: 0BF2F2FA FF0055FE
	v_mul_f32_dpp v250, v254, v122 quad_perm:[2,2,2,2] row_mask:0xf bank_mask:0xf// 00000001725C: 0BF4F4FA FF00AAFE
	v_mul_f32_dpp v251, v254, v123 quad_perm:[3,3,3,3] row_mask:0xf bank_mask:0xf// 000000017264: 0BF6F6FA FF00FFFE
	v_mul_f32_dpp v252, v255, v124 quad_perm:[0,0,0,0] row_mask:0xf bank_mask:0xf// 00000001726C: 0BF8F8FA FF0000FF
	v_mul_f32_dpp v253, v255, v125 quad_perm:[1,1,1,1] row_mask:0xf bank_mask:0xf// 000000017274: 0BFAFAFA FF0055FF
	v_mul_f32_dpp v254, v255, v126 quad_perm:[2,2,2,2] row_mask:0xf bank_mask:0xf// 00000001727C: 0BFCFCFA FF00AAFF
	v_mul_f32_dpp v255, v255, v127 quad_perm:[3,3,3,3] row_mask:0xf bank_mask:0xf// 000000017284: 0BFEFEFA FF00FFFF
	v_mov_b32_e32 v48, 0x358637bd                              // 00000001728C: 7E6002FF 358637BD
	v_max3_f32 v48, |v240|, |v241|, v48                        // 000000017294: D1D30330 04C3E3F0
	v_max3_f32 v48, |v242|, |v243|, v48                        // 00000001729C: D1D30330 04C3E7F2
	v_max3_f32 v48, |v244|, |v245|, v48                        // 0000000172A4: D1D30330 04C3EBF4
	v_max3_f32 v48, |v246|, |v247|, v48                        // 0000000172AC: D1D30330 04C3EFF6
	v_max3_f32 v48, |v248|, |v249|, v48                        // 0000000172B4: D1D30330 04C3F3F8
	v_max3_f32 v48, |v250|, |v251|, v48                        // 0000000172BC: D1D30330 04C3F7FA
	v_max3_f32 v48, |v252|, |v253|, v48                        // 0000000172C4: D1D30330 04C3FBFC
	v_max3_f32 v48, |v254|, |v255|, v48                        // 0000000172CC: D1D30330 04C3FFFE
	ds_write_b32 v8, v48 offset:20992                          // 0000000172D4: D81A5200 00003008
	v_sub_f32_e32 v49, v11, v15                                // 0000000172DC: 04621F0B
	v_cndmask_b32_e64 v49, v49, 0, s[40:41]                    // 0000000172E0: D1000031 00A10131
	v_mov_b32_e32 v11, v15                                     // 0000000172E8: 7E16030F
	v_mul_f32_e32 v49, s64, v49                                // 0000000172EC: 0A626240
	v_exp_f32_e32 v49, v49                                     // 0000000172F0: 7E624131
	s_waitcnt lgkmcnt(0)                                       // 0000000172F4: BF8CC07F
	s_barrier                                                  // 0000000172F8: BF8A0000
	ds_read_b32 v64, v7 offset:20992                           // 0000000172FC: D86C5200 40000007
	ds_read_b32 v65, v7 offset:21056                           // 000000017304: D86C5240 41000007
	ds_read_b32 v66, v7 offset:21120                           // 00000001730C: D86C5280 42000007
	ds_read_b32 v67, v7 offset:21184                           // 000000017314: D86C52C0 43000007
	ds_read_b32 v68, v7 offset:21248                           // 00000001731C: D86C5300 44000007
	ds_read_b32 v69, v7 offset:21312                           // 000000017324: D86C5340 45000007
	ds_read_b32 v70, v7 offset:21376                           // 00000001732C: D86C5380 46000007
	ds_read_b32 v71, v7 offset:21440                           // 000000017334: D86C53C0 47000007
	ds_read_b32 v72, v7 offset:21504                           // 00000001733C: D86C5400 48000007
	ds_read_b32 v73, v7 offset:21568                           // 000000017344: D86C5440 49000007
	ds_read_b32 v74, v7 offset:21632                           // 00000001734C: D86C5480 4A000007
	ds_read_b32 v75, v7 offset:21696                           // 000000017354: D86C54C0 4B000007
	ds_read_b32 v76, v7 offset:21760                           // 00000001735C: D86C5500 4C000007
	ds_read_b32 v77, v7 offset:21824                           // 000000017364: D86C5540 4D000007
	ds_read_b32 v78, v7 offset:21888                           // 00000001736C: D86C5580 4E000007
	ds_read_b32 v79, v7 offset:21952                           // 000000017374: D86C55C0 4F000007
	v_mul_f32_e32 v38, v49, v38                                // 00000001737C: 0A4C4D31
	v_mov_b32_e32 v15, v112                                    // 000000017380: 7E1E0370
	v_add_f32_e32 v15, v113, v15                               // 000000017384: 021E1F71
	v_add_f32_e32 v15, v114, v15                               // 000000017388: 021E1F72
	v_add_f32_e32 v15, v115, v15                               // 00000001738C: 021E1F73
	v_add_f32_e32 v15, v116, v15                               // 000000017390: 021E1F74
	v_add_f32_e32 v15, v117, v15                               // 000000017394: 021E1F75
	v_add_f32_e32 v15, v118, v15                               // 000000017398: 021E1F76
	v_add_f32_e32 v15, v119, v15                               // 00000001739C: 021E1F77
	v_add_f32_e32 v15, v120, v15                               // 0000000173A0: 021E1F78
	v_add_f32_e32 v15, v121, v15                               // 0000000173A4: 021E1F79
	v_add_f32_e32 v15, v122, v15                               // 0000000173A8: 021E1F7A
	v_add_f32_e32 v15, v123, v15                               // 0000000173AC: 021E1F7B
	v_add_f32_e32 v15, v124, v15                               // 0000000173B0: 021E1F7C
	v_add_f32_e32 v15, v125, v15                               // 0000000173B4: 021E1F7D
	v_add_f32_e32 v15, v126, v15                               // 0000000173B8: 021E1F7E
	v_add_f32_e32 v15, v127, v15                               // 0000000173BC: 021E1F7F
	v_add_f32_e32 v38, v15, v38                                // 0000000173C0: 024C4D0F
	s_waitcnt lgkmcnt(0)                                       // 0000000173C4: BF8CC07F
	v_max3_f32 v48, |v64|, |v65|, v48                          // 0000000173C8: D1D30330 04C28340
	v_max3_f32 v48, |v66|, |v67|, v48                          // 0000000173D0: D1D30330 04C28742
	v_max3_f32 v48, |v68|, |v69|, v48                          // 0000000173D8: D1D30330 04C28B44
	v_max3_f32 v48, |v70|, |v71|, v48                          // 0000000173E0: D1D30330 04C28F46
	v_max3_f32 v48, |v72|, |v73|, v48                          // 0000000173E8: D1D30330 04C29348
	v_max3_f32 v48, |v74|, |v75|, v48                          // 0000000173F0: D1D30330 04C2974A
	v_max3_f32 v48, |v76|, |v77|, v48                          // 0000000173F8: D1D30330 04C29B4C
	v_max3_f32 v48, |v78|, |v79|, v48                          // 000000017400: D1D30330 04C29F4E
	s_nop 2                                                    // 000000017408: BF800002
	v_rcp_f32_e32 v48, v48                                     // 00000001740C: 7E604530
	s_nop 1                                                    // 000000017410: BF800001
	v_mul_f32_e32 v48, 0x43e00000, v48                         // 000000017414: 0A6060FF 43E00000
	v_mul_f32_e32 v112, v48, v240                              // 00000001741C: 0AE1E130
	v_mul_f32_e32 v113, v48, v241                              // 000000017420: 0AE3E330
	v_mul_f32_e32 v114, v48, v242                              // 000000017424: 0AE5E530
	v_mul_f32_e32 v115, v48, v243                              // 000000017428: 0AE7E730
	v_mul_f32_e32 v116, v48, v244                              // 00000001742C: 0AE9E930
	v_mul_f32_e32 v117, v48, v245                              // 000000017430: 0AEBEB30
	v_mul_f32_e32 v118, v48, v246                              // 000000017434: 0AEDED30
	v_mul_f32_e32 v119, v48, v247                              // 000000017438: 0AEFEF30
	v_mul_f32_e32 v120, v48, v248                              // 00000001743C: 0AF1F130
	v_mul_f32_e32 v121, v48, v249                              // 000000017440: 0AF3F330
	v_mul_f32_e32 v122, v48, v250                              // 000000017444: 0AF5F530
	v_mul_f32_e32 v123, v48, v251                              // 000000017448: 0AF7F730
	v_mul_f32_e32 v124, v48, v252                              // 00000001744C: 0AF9F930
	v_mul_f32_e32 v125, v48, v253                              // 000000017450: 0AFBFB30
	v_mul_f32_e32 v126, v48, v254                              // 000000017454: 0AFDFD30
	v_mul_f32_e32 v127, v48, v255                              // 000000017458: 0AFFFF30
	v_cvt_pk_fp8_f32 v112, v112, v113                          // 00000001745C: D2A20070 0002E370
	v_cvt_pk_fp8_f32 v112, v114, v115 op_sel:[0,0,1]           // 000000017464: D2A24070 0002E772
	v_cvt_pk_fp8_f32 v113, v116, v117                          // 00000001746C: D2A20071 0002EB74
	v_cvt_pk_fp8_f32 v113, v118, v119 op_sel:[0,0,1]           // 000000017474: D2A24071 0002EF76
	v_cvt_pk_fp8_f32 v114, v120, v121                          // 00000001747C: D2A20072 0002F378
	v_cvt_pk_fp8_f32 v114, v122, v123 op_sel:[0,0,1]           // 000000017484: D2A24072 0002F77A
	v_cvt_pk_fp8_f32 v115, v124, v125                          // 00000001748C: D2A20073 0002FB7C
	v_cvt_pk_fp8_f32 v115, v126, v127 op_sel:[0,0,1]           // 000000017494: D2A24073 0002FF7E
	ds_write_b32 v10, v112 offset:25088                        // 00000001749C: D81A6200 0000700A
	ds_write_b32 v10, v113 offset:26112                        // 0000000174A4: D81A6600 0000710A
	ds_write_b32 v10, v114 offset:27136                        // 0000000174AC: D81A6A00 0000720A
	ds_write_b32 v10, v115 offset:28160                        // 0000000174B4: D81A6E00 0000730A
	v_add_f32_e32 v208, v208, v176                             // 0000000174BC: 03A161D0
	v_add_f32_e32 v209, v209, v177                             // 0000000174C0: 03A363D1
	v_add_f32_e32 v210, v210, v178                             // 0000000174C4: 03A565D2
	v_add_f32_e32 v211, v211, v179                             // 0000000174C8: 03A767D3
	v_add_f32_e32 v212, v212, v180                             // 0000000174CC: 03A969D4
	v_add_f32_e32 v213, v213, v181                             // 0000000174D0: 03AB6BD5
	v_add_f32_e32 v214, v214, v182                             // 0000000174D4: 03AD6DD6
	v_add_f32_e32 v215, v215, v183                             // 0000000174D8: 03AF6FD7
	v_rcp_f32_e32 v44, v48                                     // 0000000174DC: 7E584530
	s_waitcnt lgkmcnt(0)                                       // 0000000174E0: BF8CC07F
	s_barrier                                                  // 0000000174E4: BF8A0000
	ds_read_b64 v[112:113], v9 offset:25088                    // 0000000174E8: D8EC6200 70000009
	ds_read_b64 v[114:115], v9 offset:25216                    // 0000000174F0: D8EC6280 72000009
	ds_read_b64 v[116:117], v9 offset:26112                    // 0000000174F8: D8EC6600 74000009
	ds_read_b64 v[118:119], v9 offset:26240                    // 000000017500: D8EC6680 76000009
	ds_read_b64 v[120:121], v9 offset:27136                    // 000000017508: D8EC6A00 78000009
	ds_read_b64 v[122:123], v9 offset:27264                    // 000000017510: D8EC6A80 7A000009
	ds_read_b64 v[124:125], v9 offset:28160                    // 000000017518: D8EC6E00 7C000009
	ds_read_b64 v[126:127], v9 offset:28288                    // 000000017520: D8EC6E80 7E000009
	v_mov_b32_dpp v64, v43 row_shr:4 row_mask:0xf bank_mask:0xf// 000000017528: 7E8002FA FF01142B
	v_mov_b32_dpp v65, v43 row_shl:4 row_mask:0xf bank_mask:0xf// 000000017530: 7E8202FA FF01042B
	v_cndmask_b32_e64 v248, v43, v64, s[44:45]                 // 000000017538: D10000F8 00B2812B
	v_cndmask_b32_e64 v249, v65, v43, s[44:45]                 // 000000017540: D10000F9 00B25741
	v_mov_b32_dpp v64, v248 row_shr:8 row_mask:0xf bank_mask:0xf// 000000017548: 7E8002FA FF0118F8
	v_mov_b32_dpp v65, v248 row_shl:8 row_mask:0xf bank_mask:0xf// 000000017550: 7E8202FA FF0108F8
	v_mov_b32_dpp v66, v249 row_shr:8 row_mask:0xf bank_mask:0xf// 000000017558: 7E8402FA FF0118F9
	v_mov_b32_dpp v67, v249 row_shl:8 row_mask:0xf bank_mask:0xf// 000000017560: 7E8602FA FF0108F9
	v_mov_b32_e32 v68, v248                                    // 000000017568: 7E8803F8
	v_mov_b32_e32 v69, v249                                    // 00000001756C: 7E8A03F9
	v_cndmask_b32_e64 v248, v68, v64, s[42:43]                 // 000000017570: D10000F8 00AA8144
	v_cndmask_b32_e64 v250, v68, v65, s[78:79]                 // 000000017578: D10000FA 013A8344
	v_cndmask_b32_e64 v249, v69, v66, s[42:43]                 // 000000017580: D10000F9 00AA8545
	v_cndmask_b32_e64 v251, v69, v67, s[78:79]                 // 000000017588: D10000FB 013A8745
	v_mov_b32_dpp v64, v58 row_shr:4 row_mask:0xf bank_mask:0xf// 000000017590: 7E8002FA FF01143A
	v_mov_b32_dpp v65, v58 row_shl:4 row_mask:0xf bank_mask:0xf// 000000017598: 7E8202FA FF01043A
	v_cndmask_b32_e64 v252, v58, v64, s[44:45]                 // 0000000175A0: D10000FC 00B2813A
	v_cndmask_b32_e64 v253, v65, v58, s[44:45]                 // 0000000175A8: D10000FD 00B27541
	v_mov_b32_dpp v64, v252 row_shr:8 row_mask:0xf bank_mask:0xf// 0000000175B0: 7E8002FA FF0118FC
	v_mov_b32_dpp v65, v252 row_shl:8 row_mask:0xf bank_mask:0xf// 0000000175B8: 7E8202FA FF0108FC
	v_mov_b32_dpp v66, v253 row_shr:8 row_mask:0xf bank_mask:0xf// 0000000175C0: 7E8402FA FF0118FD
	v_mov_b32_dpp v67, v253 row_shl:8 row_mask:0xf bank_mask:0xf// 0000000175C8: 7E8602FA FF0108FD
	v_mov_b32_e32 v68, v252                                    // 0000000175D0: 7E8803FC
	v_mov_b32_e32 v69, v253                                    // 0000000175D4: 7E8A03FD
	v_cndmask_b32_e64 v252, v68, v64, s[42:43]                 // 0000000175D8: D10000FC 00AA8144
	v_cndmask_b32_e64 v254, v68, v65, s[78:79]                 // 0000000175E0: D10000FE 013A8344
	v_cndmask_b32_e64 v253, v69, v66, s[42:43]                 // 0000000175E8: D10000FD 00AA8545
	v_cndmask_b32_e64 v255, v69, v67, s[78:79]                 // 0000000175F0: D10000FF 013A8745
	v_mul_f32_e32 v128, v19, v128                              // 0000000175F8: 0B010113
	v_mul_f32_e32 v129, v19, v129                              // 0000000175FC: 0B030313
	v_mul_f32_e32 v130, v19, v130                              // 000000017600: 0B050513
	v_mul_f32_e32 v131, v19, v131                              // 000000017604: 0B070713
	v_mul_f32_e32 v132, v19, v132                              // 000000017608: 0B090913
	v_mul_f32_e32 v133, v19, v133                              // 00000001760C: 0B0B0B13
	v_mul_f32_e32 v134, v19, v134                              // 000000017610: 0B0D0D13
	v_mul_f32_e32 v135, v19, v135                              // 000000017614: 0B0F0F13
	v_mul_f32_e32 v136, v19, v136                              // 000000017618: 0B111113
	v_mul_f32_e32 v137, v19, v137                              // 00000001761C: 0B131313
	v_mul_f32_e32 v138, v19, v138                              // 000000017620: 0B151513
	v_mul_f32_e32 v139, v19, v139                              // 000000017624: 0B171713
	v_mul_f32_e32 v140, v19, v140                              // 000000017628: 0B191913
	v_mul_f32_e32 v141, v19, v141                              // 00000001762C: 0B1B1B13
	v_mul_f32_e32 v142, v19, v142                              // 000000017630: 0B1D1D13
	v_mul_f32_e32 v143, v19, v143                              // 000000017634: 0B1F1F13
	v_mul_f32_dpp v128, v248, v128 quad_perm:[0,0,0,0] row_mask:0xf bank_mask:0xf// 000000017638: 0B0100FA FF0000F8
	v_mul_f32_dpp v129, v248, v129 quad_perm:[1,1,1,1] row_mask:0xf bank_mask:0xf// 000000017640: 0B0302FA FF0055F8
	v_mul_f32_dpp v130, v248, v130 quad_perm:[2,2,2,2] row_mask:0xf bank_mask:0xf// 000000017648: 0B0504FA FF00AAF8
	v_mul_f32_dpp v131, v248, v131 quad_perm:[3,3,3,3] row_mask:0xf bank_mask:0xf// 000000017650: 0B0706FA FF00FFF8
	v_mul_f32_dpp v132, v249, v132 quad_perm:[0,0,0,0] row_mask:0xf bank_mask:0xf// 000000017658: 0B0908FA FF0000F9
	v_mul_f32_dpp v133, v249, v133 quad_perm:[1,1,1,1] row_mask:0xf bank_mask:0xf// 000000017660: 0B0B0AFA FF0055F9
	v_mul_f32_dpp v134, v249, v134 quad_perm:[2,2,2,2] row_mask:0xf bank_mask:0xf// 000000017668: 0B0D0CFA FF00AAF9
	v_mul_f32_dpp v135, v249, v135 quad_perm:[3,3,3,3] row_mask:0xf bank_mask:0xf// 000000017670: 0B0F0EFA FF00FFF9
	v_mul_f32_dpp v136, v250, v136 quad_perm:[0,0,0,0] row_mask:0xf bank_mask:0xf// 000000017678: 0B1110FA FF0000FA
	v_mul_f32_dpp v137, v250, v137 quad_perm:[1,1,1,1] row_mask:0xf bank_mask:0xf// 000000017680: 0B1312FA FF0055FA
	v_mul_f32_dpp v138, v250, v138 quad_perm:[2,2,2,2] row_mask:0xf bank_mask:0xf// 000000017688: 0B1514FA FF00AAFA
	v_mul_f32_dpp v139, v250, v139 quad_perm:[3,3,3,3] row_mask:0xf bank_mask:0xf// 000000017690: 0B1716FA FF00FFFA
	v_mul_f32_dpp v140, v251, v140 quad_perm:[0,0,0,0] row_mask:0xf bank_mask:0xf// 000000017698: 0B1918FA FF0000FB
	v_mul_f32_dpp v141, v251, v141 quad_perm:[1,1,1,1] row_mask:0xf bank_mask:0xf// 0000000176A0: 0B1B1AFA FF0055FB
	v_mul_f32_dpp v142, v251, v142 quad_perm:[2,2,2,2] row_mask:0xf bank_mask:0xf// 0000000176A8: 0B1D1CFA FF00AAFB
	v_mul_f32_dpp v143, v251, v143 quad_perm:[3,3,3,3] row_mask:0xf bank_mask:0xf// 0000000176B0: 0B1F1EFA FF00FFFB
	s_and_b32 s60, s72, 0xff                                   // 0000000176B8: 863CFF48 000000FF
	v_mov_b32_e32 v65, s60                                     // 0000000176C0: 7E82023C
	v_lshrrev_b32_e32 v240, 4, v0                              // 0000000176C4: 21E00084
	v_mul_i32_i24_e32 v240, 4, v240                            // 0000000176C8: 0DE1E084
	s_mul_i32 s60, s7, 16                                      // 0000000176CC: 923C9007
	v_add_u32_e32 v240, s60, v240                              // 0000000176D0: 69E1E03C
	v_add_u32_e32 v241, 1, v240                                // 0000000176D4: 69E3E081
	v_add_u32_e32 v242, 2, v240                                // 0000000176D8: 69E5E082
	v_add_u32_e32 v243, 3, v240                                // 0000000176DC: 69E7E083
	v_mov_b32_e32 v64, 0xff800000                              // 0000000176E0: 7E8002FF FF800000
	v_cmp_lt_u32_e64 s[40:41], v240, v65                       // 0000000176E8: D0C90028 000283F0
	v_add_u32_e32 v240, 64, v240                               // 0000000176F0: 69E1E0C0
	s_nop 0                                                    // 0000000176F4: BF800000
	v_cndmask_b32_e64 v128, v64, v128, s[40:41]                // 0000000176F8: D1000080 00A30140
	v_cmp_lt_u32_e64 s[40:41], v241, v65                       // 000000017700: D0C90028 000283F1
	v_add_u32_e32 v241, 64, v241                               // 000000017708: 69E3E2C0
	s_nop 0                                                    // 00000001770C: BF800000
	v_cndmask_b32_e64 v129, v64, v129, s[40:41]                // 000000017710: D1000081 00A30340
	v_cmp_lt_u32_e64 s[40:41], v242, v65                       // 000000017718: D0C90028 000283F2
	v_add_u32_e32 v242, 64, v242                               // 000000017720: 69E5E4C0
	s_nop 0                                                    // 000000017724: BF800000
	v_cndmask_b32_e64 v130, v64, v130, s[40:41]                // 000000017728: D1000082 00A30540
	v_cmp_lt_u32_e64 s[40:41], v243, v65                       // 000000017730: D0C90028 000283F3
	v_add_u32_e32 v243, 64, v243                               // 000000017738: 69E7E6C0
	s_nop 0                                                    // 00000001773C: BF800000
	v_cndmask_b32_e64 v131, v64, v131, s[40:41]                // 000000017740: D1000083 00A30740
	v_cmp_lt_u32_e64 s[40:41], v240, v65                       // 000000017748: D0C90028 000283F0
	v_add_u32_e32 v240, 64, v240                               // 000000017750: 69E1E0C0
	s_nop 0                                                    // 000000017754: BF800000
	v_cndmask_b32_e64 v132, v64, v132, s[40:41]                // 000000017758: D1000084 00A30940
	v_cmp_lt_u32_e64 s[40:41], v241, v65                       // 000000017760: D0C90028 000283F1
	v_add_u32_e32 v241, 64, v241                               // 000000017768: 69E3E2C0
	s_nop 0                                                    // 00000001776C: BF800000
	v_cndmask_b32_e64 v133, v64, v133, s[40:41]                // 000000017770: D1000085 00A30B40
	v_cmp_lt_u32_e64 s[40:41], v242, v65                       // 000000017778: D0C90028 000283F2
	v_add_u32_e32 v242, 64, v242                               // 000000017780: 69E5E4C0
	s_nop 0                                                    // 000000017784: BF800000
	v_cndmask_b32_e64 v134, v64, v134, s[40:41]                // 000000017788: D1000086 00A30D40
	v_cmp_lt_u32_e64 s[40:41], v243, v65                       // 000000017790: D0C90028 000283F3
	v_add_u32_e32 v243, 64, v243                               // 000000017798: 69E7E6C0
	s_nop 0                                                    // 00000001779C: BF800000
	v_cndmask_b32_e64 v135, v64, v135, s[40:41]                // 0000000177A0: D1000087 00A30F40
	v_cmp_lt_u32_e64 s[40:41], v240, v65                       // 0000000177A8: D0C90028 000283F0
	v_add_u32_e32 v240, 64, v240                               // 0000000177B0: 69E1E0C0
	s_nop 0                                                    // 0000000177B4: BF800000
	v_cndmask_b32_e64 v136, v64, v136, s[40:41]                // 0000000177B8: D1000088 00A31140
	v_cmp_lt_u32_e64 s[40:41], v241, v65                       // 0000000177C0: D0C90028 000283F1
	v_add_u32_e32 v241, 64, v241                               // 0000000177C8: 69E3E2C0
	s_nop 0                                                    // 0000000177CC: BF800000
	v_cndmask_b32_e64 v137, v64, v137, s[40:41]                // 0000000177D0: D1000089 00A31340
	v_cmp_lt_u32_e64 s[40:41], v242, v65                       // 0000000177D8: D0C90028 000283F2
	v_add_u32_e32 v242, 64, v242                               // 0000000177E0: 69E5E4C0
	s_nop 0                                                    // 0000000177E4: BF800000
	v_cndmask_b32_e64 v138, v64, v138, s[40:41]                // 0000000177E8: D100008A 00A31540
	v_cmp_lt_u32_e64 s[40:41], v243, v65                       // 0000000177F0: D0C90028 000283F3
	v_add_u32_e32 v243, 64, v243                               // 0000000177F8: 69E7E6C0
	s_nop 0                                                    // 0000000177FC: BF800000
	v_cndmask_b32_e64 v139, v64, v139, s[40:41]                // 000000017800: D100008B 00A31740
	v_cmp_lt_u32_e64 s[40:41], v240, v65                       // 000000017808: D0C90028 000283F0
	v_add_u32_e32 v240, 64, v240                               // 000000017810: 69E1E0C0
	s_nop 0                                                    // 000000017814: BF800000
	v_cndmask_b32_e64 v140, v64, v140, s[40:41]                // 000000017818: D100008C 00A31940
	v_cmp_lt_u32_e64 s[40:41], v241, v65                       // 000000017820: D0C90028 000283F1
	v_add_u32_e32 v241, 64, v241                               // 000000017828: 69E3E2C0
	s_nop 0                                                    // 00000001782C: BF800000
	v_cndmask_b32_e64 v141, v64, v141, s[40:41]                // 000000017830: D100008D 00A31B40
	v_cmp_lt_u32_e64 s[40:41], v242, v65                       // 000000017838: D0C90028 000283F2
	v_add_u32_e32 v242, 64, v242                               // 000000017840: 69E5E4C0
	s_nop 0                                                    // 000000017844: BF800000
	v_cndmask_b32_e64 v142, v64, v142, s[40:41]                // 000000017848: D100008E 00A31D40
	v_cmp_lt_u32_e64 s[40:41], v243, v65                       // 000000017850: D0C90028 000283F3
	v_add_u32_e32 v243, 64, v243                               // 000000017858: 69E7E6C0
	s_nop 0                                                    // 00000001785C: BF800000
	v_cndmask_b32_e64 v143, v64, v143, s[40:41]                // 000000017860: D100008F 00A31F40
	v_mov_b32_e32 v48, v128                                    // 000000017868: 7E600380
	v_max3_f32 v48, v128, v129, v48                            // 00000001786C: D1D30030 04C30380
	v_max3_f32 v48, v130, v131, v48                            // 000000017874: D1D30030 04C30782
	v_max3_f32 v48, v132, v133, v48                            // 00000001787C: D1D30030 04C30B84
	v_max3_f32 v48, v134, v135, v48                            // 000000017884: D1D30030 04C30F86
	v_max3_f32 v48, v136, v137, v48                            // 00000001788C: D1D30030 04C31388
	v_max3_f32 v48, v138, v139, v48                            // 000000017894: D1D30030 04C3178A
	v_max3_f32 v48, v140, v141, v48                            // 00000001789C: D1D30030 04C31B8C
	v_max3_f32 v48, v142, v143, v48                            // 0000000178A4: D1D30030 04C31F8E
	ds_write_b32 v8, v48 offset:16896                          // 0000000178AC: D81A4200 00003008
	v_mul_f32_e32 v216, v50, v216                              // 0000000178B4: 0BB1B132
	v_mul_f32_e32 v217, v50, v217                              // 0000000178B8: 0BB3B332
	v_mul_f32_e32 v218, v50, v218                              // 0000000178BC: 0BB5B532
	v_mul_f32_e32 v219, v50, v219                              // 0000000178C0: 0BB7B732
	v_mul_f32_e32 v220, v50, v220                              // 0000000178C4: 0BB9B932
	v_mul_f32_e32 v221, v50, v221                              // 0000000178C8: 0BBBBB32
	v_mul_f32_e32 v222, v50, v222                              // 0000000178CC: 0BBDBD32
	v_mul_f32_e32 v223, v50, v223                              // 0000000178D0: 0BBFBF32
	s_waitcnt lgkmcnt(0)                                       // 0000000178D4: BF8CC07F
	s_barrier                                                  // 0000000178D8: BF8A0000
	ds_read_b32 v64, v7 offset:16896                           // 0000000178DC: D86C4200 40000007
	ds_read_b32 v65, v7 offset:16960                           // 0000000178E4: D86C4240 41000007
	ds_read_b32 v66, v7 offset:17024                           // 0000000178EC: D86C4280 42000007
	ds_read_b32 v67, v7 offset:17088                           // 0000000178F4: D86C42C0 43000007
	ds_read_b32 v68, v7 offset:17152                           // 0000000178FC: D86C4300 44000007
	ds_read_b32 v69, v7 offset:17216                           // 000000017904: D86C4340 45000007
	ds_read_b32 v70, v7 offset:17280                           // 00000001790C: D86C4380 46000007
	ds_read_b32 v71, v7 offset:17344                           // 000000017914: D86C43C0 47000007
	ds_read_b32 v72, v7 offset:17408                           // 00000001791C: D86C4400 48000007
	ds_read_b32 v73, v7 offset:17472                           // 000000017924: D86C4440 49000007
	ds_read_b32 v74, v7 offset:17536                           // 00000001792C: D86C4480 4A000007
	ds_read_b32 v75, v7 offset:17600                           // 000000017934: D86C44C0 4B000007
	ds_read_b32 v76, v7 offset:17664                           // 00000001793C: D86C4500 4C000007
	ds_read_b32 v77, v7 offset:17728                           // 000000017944: D86C4540 4D000007
	ds_read_b32 v78, v7 offset:17792                           // 00000001794C: D86C4580 4E000007
	ds_read_b32 v79, v7 offset:17856                           // 000000017954: D86C45C0 4F000007
	v_mul_f32_e32 v184, v45, v184                              // 00000001795C: 0B71712D
	v_mul_f32_e32 v185, v45, v185                              // 000000017960: 0B73732D
	v_mul_f32_e32 v186, v45, v186                              // 000000017964: 0B75752D
	v_mul_f32_e32 v187, v45, v187                              // 000000017968: 0B77772D
	v_mul_f32_e32 v188, v45, v188                              // 00000001796C: 0B79792D
	v_mul_f32_e32 v189, v45, v189                              // 000000017970: 0B7B7B2D
	v_mul_f32_e32 v190, v45, v190                              // 000000017974: 0B7D7D2D
	v_mul_f32_e32 v191, v45, v191                              // 000000017978: 0B7F7F2D
	s_waitcnt lgkmcnt(0)                                       // 00000001797C: BF8CC07F
	v_max3_f32 v48, v64, v65, v48                              // 000000017980: D1D30030 04C28340
	v_max3_f32 v48, v66, v67, v48                              // 000000017988: D1D30030 04C28742
	v_max3_f32 v48, v68, v69, v48                              // 000000017990: D1D30030 04C28B44
	v_max3_f32 v48, v70, v71, v48                              // 000000017998: D1D30030 04C28F46
	v_max3_f32 v48, v72, v73, v48                              // 0000000179A0: D1D30030 04C29348
	v_max3_f32 v48, v74, v75, v48                              // 0000000179A8: D1D30030 04C2974A
	v_max3_f32 v48, v76, v77, v48                              // 0000000179B0: D1D30030 04C29B4C
	v_max3_f32 v48, v78, v79, v48                              // 0000000179B8: D1D30030 04C29F4E
	v_mov_b32_e32 v64, 0xff800000                              // 0000000179C0: 7E8002FF FF800000
	v_cmp_eq_u32_e64 s[40:41], v64, v12                        // 0000000179C8: D0CA0028 00021940
	s_nop 1                                                    // 0000000179D0: BF800001
	v_max_f32_e32 v15, v48, v12                                // 0000000179D4: 161E1930
	v_mul_f32_e32 v53, s64, v15                                // 0000000179D8: 0A6A1E40
	v_fma_f32 v128, v128, s64, -v53                            // 0000000179DC: D1CB0080 84D48180
	v_fma_f32 v129, v129, s64, -v53                            // 0000000179E4: D1CB0081 84D48181
	v_fma_f32 v130, v130, s64, -v53                            // 0000000179EC: D1CB0082 84D48182
	v_fma_f32 v131, v131, s64, -v53                            // 0000000179F4: D1CB0083 84D48183
	v_fma_f32 v132, v132, s64, -v53                            // 0000000179FC: D1CB0084 84D48184
	v_fma_f32 v133, v133, s64, -v53                            // 000000017A04: D1CB0085 84D48185
	v_fma_f32 v134, v134, s64, -v53                            // 000000017A0C: D1CB0086 84D48186
	v_fma_f32 v135, v135, s64, -v53                            // 000000017A14: D1CB0087 84D48187
	v_fma_f32 v136, v136, s64, -v53                            // 000000017A1C: D1CB0088 84D48188
	v_fma_f32 v137, v137, s64, -v53                            // 000000017A24: D1CB0089 84D48189
	v_fma_f32 v138, v138, s64, -v53                            // 000000017A2C: D1CB008A 84D4818A
	v_fma_f32 v139, v139, s64, -v53                            // 000000017A34: D1CB008B 84D4818B
	v_fma_f32 v140, v140, s64, -v53                            // 000000017A3C: D1CB008C 84D4818C
	v_fma_f32 v141, v141, s64, -v53                            // 000000017A44: D1CB008D 84D4818D
	v_fma_f32 v142, v142, s64, -v53                            // 000000017A4C: D1CB008E 84D4818E
	v_fma_f32 v143, v143, s64, -v53                            // 000000017A54: D1CB008F 84D4818F
	v_exp_f32_e32 v128, v128                                   // 000000017A5C: 7F004180
	v_exp_f32_e32 v129, v129                                   // 000000017A60: 7F024181
	v_exp_f32_e32 v130, v130                                   // 000000017A64: 7F044182
	v_exp_f32_e32 v131, v131                                   // 000000017A68: 7F064183
	v_exp_f32_e32 v132, v132                                   // 000000017A6C: 7F084184
	v_exp_f32_e32 v133, v133                                   // 000000017A70: 7F0A4185
	v_exp_f32_e32 v134, v134                                   // 000000017A74: 7F0C4186
	v_exp_f32_e32 v135, v135                                   // 000000017A78: 7F0E4187
	v_exp_f32_e32 v136, v136                                   // 000000017A7C: 7F104188
	v_exp_f32_e32 v137, v137                                   // 000000017A80: 7F124189
	v_exp_f32_e32 v138, v138                                   // 000000017A84: 7F14418A
	v_exp_f32_e32 v139, v139                                   // 000000017A88: 7F16418B
	v_exp_f32_e32 v140, v140                                   // 000000017A8C: 7F18418C
	v_exp_f32_e32 v141, v141                                   // 000000017A90: 7F1A418D
	v_exp_f32_e32 v142, v142                                   // 000000017A94: 7F1C418E
	v_exp_f32_e32 v143, v143                                   // 000000017A98: 7F1E418F
	v_mul_f32_dpp v240, v252, v128 quad_perm:[0,0,0,0] row_mask:0xf bank_mask:0xf// 000000017A9C: 0BE100FA FF0000FC
	v_mul_f32_dpp v241, v252, v129 quad_perm:[1,1,1,1] row_mask:0xf bank_mask:0xf// 000000017AA4: 0BE302FA FF0055FC
	v_mul_f32_dpp v242, v252, v130 quad_perm:[2,2,2,2] row_mask:0xf bank_mask:0xf// 000000017AAC: 0BE504FA FF00AAFC
	v_mul_f32_dpp v243, v252, v131 quad_perm:[3,3,3,3] row_mask:0xf bank_mask:0xf// 000000017AB4: 0BE706FA FF00FFFC
	v_mul_f32_dpp v244, v253, v132 quad_perm:[0,0,0,0] row_mask:0xf bank_mask:0xf// 000000017ABC: 0BE908FA FF0000FD
	v_mul_f32_dpp v245, v253, v133 quad_perm:[1,1,1,1] row_mask:0xf bank_mask:0xf// 000000017AC4: 0BEB0AFA FF0055FD
	v_mul_f32_dpp v246, v253, v134 quad_perm:[2,2,2,2] row_mask:0xf bank_mask:0xf// 000000017ACC: 0BED0CFA FF00AAFD
	v_mul_f32_dpp v247, v253, v135 quad_perm:[3,3,3,3] row_mask:0xf bank_mask:0xf// 000000017AD4: 0BEF0EFA FF00FFFD
	v_mul_f32_dpp v248, v254, v136 quad_perm:[0,0,0,0] row_mask:0xf bank_mask:0xf// 000000017ADC: 0BF110FA FF0000FE
	v_mul_f32_dpp v249, v254, v137 quad_perm:[1,1,1,1] row_mask:0xf bank_mask:0xf// 000000017AE4: 0BF312FA FF0055FE
	v_mul_f32_dpp v250, v254, v138 quad_perm:[2,2,2,2] row_mask:0xf bank_mask:0xf// 000000017AEC: 0BF514FA FF00AAFE
	v_mul_f32_dpp v251, v254, v139 quad_perm:[3,3,3,3] row_mask:0xf bank_mask:0xf// 000000017AF4: 0BF716FA FF00FFFE
	v_mul_f32_dpp v252, v255, v140 quad_perm:[0,0,0,0] row_mask:0xf bank_mask:0xf// 000000017AFC: 0BF918FA FF0000FF
	v_mul_f32_dpp v253, v255, v141 quad_perm:[1,1,1,1] row_mask:0xf bank_mask:0xf// 000000017B04: 0BFB1AFA FF0055FF
	v_mul_f32_dpp v254, v255, v142 quad_perm:[2,2,2,2] row_mask:0xf bank_mask:0xf// 000000017B0C: 0BFD1CFA FF00AAFF
	v_mul_f32_dpp v255, v255, v143 quad_perm:[3,3,3,3] row_mask:0xf bank_mask:0xf// 000000017B14: 0BFF1EFA FF00FFFF
	v_mov_b32_e32 v48, 0x358637bd                              // 000000017B1C: 7E6002FF 358637BD
	v_max3_f32 v48, |v240|, |v241|, v48                        // 000000017B24: D1D30330 04C3E3F0
	v_max3_f32 v48, |v242|, |v243|, v48                        // 000000017B2C: D1D30330 04C3E7F2
	v_max3_f32 v48, |v244|, |v245|, v48                        // 000000017B34: D1D30330 04C3EBF4
	v_max3_f32 v48, |v246|, |v247|, v48                        // 000000017B3C: D1D30330 04C3EFF6
	v_max3_f32 v48, |v248|, |v249|, v48                        // 000000017B44: D1D30330 04C3F3F8
	v_max3_f32 v48, |v250|, |v251|, v48                        // 000000017B4C: D1D30330 04C3F7FA
	v_max3_f32 v48, |v252|, |v253|, v48                        // 000000017B54: D1D30330 04C3FBFC
	v_max3_f32 v48, |v254|, |v255|, v48                        // 000000017B5C: D1D30330 04C3FFFE
	ds_write_b32 v8, v48 offset:20992                          // 000000017B64: D81A5200 00003008
	v_sub_f32_e32 v50, v12, v15                                // 000000017B6C: 04641F0C
	v_cndmask_b32_e64 v50, v50, 0, s[40:41]                    // 000000017B70: D1000032 00A10132
	v_mov_b32_e32 v12, v15                                     // 000000017B78: 7E18030F
	v_mul_f32_e32 v50, s64, v50                                // 000000017B7C: 0A646440
	v_exp_f32_e32 v50, v50                                     // 000000017B80: 7E644132
	s_waitcnt lgkmcnt(0)                                       // 000000017B84: BF8CC07F
	s_barrier                                                  // 000000017B88: BF8A0000
	ds_read_b32 v64, v7 offset:20992                           // 000000017B8C: D86C5200 40000007
	ds_read_b32 v65, v7 offset:21056                           // 000000017B94: D86C5240 41000007
	ds_read_b32 v66, v7 offset:21120                           // 000000017B9C: D86C5280 42000007
	ds_read_b32 v67, v7 offset:21184                           // 000000017BA4: D86C52C0 43000007
	ds_read_b32 v68, v7 offset:21248                           // 000000017BAC: D86C5300 44000007
	ds_read_b32 v69, v7 offset:21312                           // 000000017BB4: D86C5340 45000007
	ds_read_b32 v70, v7 offset:21376                           // 000000017BBC: D86C5380 46000007
	ds_read_b32 v71, v7 offset:21440                           // 000000017BC4: D86C53C0 47000007
	ds_read_b32 v72, v7 offset:21504                           // 000000017BCC: D86C5400 48000007
	ds_read_b32 v73, v7 offset:21568                           // 000000017BD4: D86C5440 49000007
	ds_read_b32 v74, v7 offset:21632                           // 000000017BDC: D86C5480 4A000007
	ds_read_b32 v75, v7 offset:21696                           // 000000017BE4: D86C54C0 4B000007
	ds_read_b32 v76, v7 offset:21760                           // 000000017BEC: D86C5500 4C000007
	ds_read_b32 v77, v7 offset:21824                           // 000000017BF4: D86C5540 4D000007
	ds_read_b32 v78, v7 offset:21888                           // 000000017BFC: D86C5580 4E000007
	ds_read_b32 v79, v7 offset:21952                           // 000000017C04: D86C55C0 4F000007
	v_mul_f32_e32 v39, v50, v39                                // 000000017C0C: 0A4E4F32
	v_mov_b32_e32 v15, v128                                    // 000000017C10: 7E1E0380
	v_add_f32_e32 v15, v129, v15                               // 000000017C14: 021E1F81
	v_add_f32_e32 v15, v130, v15                               // 000000017C18: 021E1F82
	v_add_f32_e32 v15, v131, v15                               // 000000017C1C: 021E1F83
	v_add_f32_e32 v15, v132, v15                               // 000000017C20: 021E1F84
	v_add_f32_e32 v15, v133, v15                               // 000000017C24: 021E1F85
	v_add_f32_e32 v15, v134, v15                               // 000000017C28: 021E1F86
	v_add_f32_e32 v15, v135, v15                               // 000000017C2C: 021E1F87
	v_add_f32_e32 v15, v136, v15                               // 000000017C30: 021E1F88
	v_add_f32_e32 v15, v137, v15                               // 000000017C34: 021E1F89
	v_add_f32_e32 v15, v138, v15                               // 000000017C38: 021E1F8A
	v_add_f32_e32 v15, v139, v15                               // 000000017C3C: 021E1F8B
	v_add_f32_e32 v15, v140, v15                               // 000000017C40: 021E1F8C
	v_add_f32_e32 v15, v141, v15                               // 000000017C44: 021E1F8D
	v_add_f32_e32 v15, v142, v15                               // 000000017C48: 021E1F8E
	v_add_f32_e32 v15, v143, v15                               // 000000017C4C: 021E1F8F
	v_add_f32_e32 v39, v15, v39                                // 000000017C50: 024E4F0F
	s_waitcnt lgkmcnt(0)                                       // 000000017C54: BF8CC07F
	v_max3_f32 v48, |v64|, |v65|, v48                          // 000000017C58: D1D30330 04C28340
	v_max3_f32 v48, |v66|, |v67|, v48                          // 000000017C60: D1D30330 04C28742
	v_max3_f32 v48, |v68|, |v69|, v48                          // 000000017C68: D1D30330 04C28B44
	v_max3_f32 v48, |v70|, |v71|, v48                          // 000000017C70: D1D30330 04C28F46
	v_max3_f32 v48, |v72|, |v73|, v48                          // 000000017C78: D1D30330 04C29348
	v_max3_f32 v48, |v74|, |v75|, v48                          // 000000017C80: D1D30330 04C2974A
	v_max3_f32 v48, |v76|, |v77|, v48                          // 000000017C88: D1D30330 04C29B4C
	v_max3_f32 v48, |v78|, |v79|, v48                          // 000000017C90: D1D30330 04C29F4E
	s_nop 2                                                    // 000000017C98: BF800002
	v_rcp_f32_e32 v48, v48                                     // 000000017C9C: 7E604530
	s_nop 1                                                    // 000000017CA0: BF800001
	v_mul_f32_e32 v48, 0x43e00000, v48                         // 000000017CA4: 0A6060FF 43E00000
	v_mul_f32_e32 v128, v48, v240                              // 000000017CAC: 0B01E130
	v_mul_f32_e32 v129, v48, v241                              // 000000017CB0: 0B03E330
	v_mul_f32_e32 v130, v48, v242                              // 000000017CB4: 0B05E530
	v_mul_f32_e32 v131, v48, v243                              // 000000017CB8: 0B07E730
	v_mul_f32_e32 v132, v48, v244                              // 000000017CBC: 0B09E930
	v_mul_f32_e32 v133, v48, v245                              // 000000017CC0: 0B0BEB30
	v_mul_f32_e32 v134, v48, v246                              // 000000017CC4: 0B0DED30
	v_mul_f32_e32 v135, v48, v247                              // 000000017CC8: 0B0FEF30
	v_mul_f32_e32 v136, v48, v248                              // 000000017CCC: 0B11F130
	v_mul_f32_e32 v137, v48, v249                              // 000000017CD0: 0B13F330
	v_mul_f32_e32 v138, v48, v250                              // 000000017CD4: 0B15F530
	v_mul_f32_e32 v139, v48, v251                              // 000000017CD8: 0B17F730
	v_mul_f32_e32 v140, v48, v252                              // 000000017CDC: 0B19F930
	v_mul_f32_e32 v141, v48, v253                              // 000000017CE0: 0B1BFB30
	v_mul_f32_e32 v142, v48, v254                              // 000000017CE4: 0B1DFD30
	v_mul_f32_e32 v143, v48, v255                              // 000000017CE8: 0B1FFF30
	v_cvt_pk_fp8_f32 v128, v128, v129                          // 000000017CEC: D2A20080 00030380
	v_cvt_pk_fp8_f32 v128, v130, v131 op_sel:[0,0,1]           // 000000017CF4: D2A24080 00030782
	v_cvt_pk_fp8_f32 v129, v132, v133                          // 000000017CFC: D2A20081 00030B84
	v_cvt_pk_fp8_f32 v129, v134, v135 op_sel:[0,0,1]           // 000000017D04: D2A24081 00030F86
	v_cvt_pk_fp8_f32 v130, v136, v137                          // 000000017D0C: D2A20082 00031388
	v_cvt_pk_fp8_f32 v130, v138, v139 op_sel:[0,0,1]           // 000000017D14: D2A24082 0003178A
	v_cvt_pk_fp8_f32 v131, v140, v141                          // 000000017D1C: D2A20083 00031B8C
	v_cvt_pk_fp8_f32 v131, v142, v143 op_sel:[0,0,1]           // 000000017D24: D2A24083 00031F8E
	ds_write_b32 v10, v128 offset:29184                        // 000000017D2C: D81A7200 0000800A
	ds_write_b32 v10, v129 offset:30208                        // 000000017D34: D81A7600 0000810A
	ds_write_b32 v10, v130 offset:31232                        // 000000017D3C: D81A7A00 0000820A
	ds_write_b32 v10, v131 offset:32256                        // 000000017D44: D81A7E00 0000830A
	v_add_f32_e32 v216, v216, v184                             // 000000017D4C: 03B171D8
	v_add_f32_e32 v217, v217, v185                             // 000000017D50: 03B373D9
	v_add_f32_e32 v218, v218, v186                             // 000000017D54: 03B575DA
	v_add_f32_e32 v219, v219, v187                             // 000000017D58: 03B777DB
	v_add_f32_e32 v220, v220, v188                             // 000000017D5C: 03B979DC
	v_add_f32_e32 v221, v221, v189                             // 000000017D60: 03BB7BDD
	v_add_f32_e32 v222, v222, v190                             // 000000017D64: 03BD7DDE
	v_add_f32_e32 v223, v223, v191                             // 000000017D68: 03BF7FDF
	v_rcp_f32_e32 v45, v48                                     // 000000017D6C: 7E5A4530
	s_waitcnt lgkmcnt(0)                                       // 000000017D70: BF8CC07F
	s_barrier                                                  // 000000017D74: BF8A0000
	ds_read_b64 v[128:129], v9 offset:29184                    // 000000017D78: D8EC7200 80000009
	ds_read_b64 v[130:131], v9 offset:29312                    // 000000017D80: D8EC7280 82000009
	ds_read_b64 v[132:133], v9 offset:30208                    // 000000017D88: D8EC7600 84000009
	ds_read_b64 v[134:135], v9 offset:30336                    // 000000017D90: D8EC7680 86000009
	ds_read_b64 v[136:137], v9 offset:31232                    // 000000017D98: D8EC7A00 88000009
	ds_read_b64 v[138:139], v9 offset:31360                    // 000000017DA0: D8EC7A80 8A000009
	ds_read_b64 v[140:141], v9 offset:32256                    // 000000017DA8: D8EC7E00 8C000009
	ds_read_b64 v[142:143], v9 offset:32384                    // 000000017DB0: D8EC7E80 8E000009
	v_mov_b32_dpp v64, v43 row_shr:4 row_mask:0xf bank_mask:0xf// 000000017DB8: 7E8002FA FF01142B
	v_mov_b32_dpp v65, v43 row_shl:4 row_mask:0xf bank_mask:0xf// 000000017DC0: 7E8202FA FF01042B
	v_cndmask_b32_e64 v248, v43, v64, s[44:45]                 // 000000017DC8: D10000F8 00B2812B
	v_cndmask_b32_e64 v249, v65, v43, s[44:45]                 // 000000017DD0: D10000F9 00B25741
	v_mov_b32_dpp v64, v248 row_shr:8 row_mask:0xf bank_mask:0xf// 000000017DD8: 7E8002FA FF0118F8
	v_mov_b32_dpp v65, v248 row_shl:8 row_mask:0xf bank_mask:0xf// 000000017DE0: 7E8202FA FF0108F8
	v_mov_b32_dpp v66, v249 row_shr:8 row_mask:0xf bank_mask:0xf// 000000017DE8: 7E8402FA FF0118F9
	v_mov_b32_dpp v67, v249 row_shl:8 row_mask:0xf bank_mask:0xf// 000000017DF0: 7E8602FA FF0108F9
	v_mov_b32_e32 v68, v248                                    // 000000017DF8: 7E8803F8
	v_mov_b32_e32 v69, v249                                    // 000000017DFC: 7E8A03F9
	v_cndmask_b32_e64 v248, v68, v64, s[42:43]                 // 000000017E00: D10000F8 00AA8144
	v_cndmask_b32_e64 v250, v68, v65, s[78:79]                 // 000000017E08: D10000FA 013A8344
	v_cndmask_b32_e64 v249, v69, v66, s[42:43]                 // 000000017E10: D10000F9 00AA8545
	v_cndmask_b32_e64 v251, v69, v67, s[78:79]                 // 000000017E18: D10000FB 013A8745
	v_mov_b32_dpp v64, v58 row_shr:4 row_mask:0xf bank_mask:0xf// 000000017E20: 7E8002FA FF01143A
	v_mov_b32_dpp v65, v58 row_shl:4 row_mask:0xf bank_mask:0xf// 000000017E28: 7E8202FA FF01043A
	v_cndmask_b32_e64 v252, v58, v64, s[44:45]                 // 000000017E30: D10000FC 00B2813A
	v_cndmask_b32_e64 v253, v65, v58, s[44:45]                 // 000000017E38: D10000FD 00B27541
	v_mov_b32_dpp v64, v252 row_shr:8 row_mask:0xf bank_mask:0xf// 000000017E40: 7E8002FA FF0118FC
	v_mov_b32_dpp v65, v252 row_shl:8 row_mask:0xf bank_mask:0xf// 000000017E48: 7E8202FA FF0108FC
	v_mov_b32_dpp v66, v253 row_shr:8 row_mask:0xf bank_mask:0xf// 000000017E50: 7E8402FA FF0118FD
	v_mov_b32_dpp v67, v253 row_shl:8 row_mask:0xf bank_mask:0xf// 000000017E58: 7E8602FA FF0108FD
	v_mov_b32_e32 v68, v252                                    // 000000017E60: 7E8803FC
	v_mov_b32_e32 v69, v253                                    // 000000017E64: 7E8A03FD
	v_cndmask_b32_e64 v252, v68, v64, s[42:43]                 // 000000017E68: D10000FC 00AA8144
	v_cndmask_b32_e64 v254, v68, v65, s[78:79]                 // 000000017E70: D10000FE 013A8344
	v_cndmask_b32_e64 v253, v69, v66, s[42:43]                 // 000000017E78: D10000FD 00AA8545
	v_cndmask_b32_e64 v255, v69, v67, s[78:79]                 // 000000017E80: D10000FF 013A8745
	v_mul_f32_e32 v144, v20, v144                              // 000000017E88: 0B212114
	v_mul_f32_e32 v145, v20, v145                              // 000000017E8C: 0B232314
	v_mul_f32_e32 v146, v20, v146                              // 000000017E90: 0B252514
	v_mul_f32_e32 v147, v20, v147                              // 000000017E94: 0B272714
	v_mul_f32_e32 v148, v20, v148                              // 000000017E98: 0B292914
	v_mul_f32_e32 v149, v20, v149                              // 000000017E9C: 0B2B2B14
	v_mul_f32_e32 v150, v20, v150                              // 000000017EA0: 0B2D2D14
	v_mul_f32_e32 v151, v20, v151                              // 000000017EA4: 0B2F2F14
	v_mul_f32_e32 v152, v20, v152                              // 000000017EA8: 0B313114
	v_mul_f32_e32 v153, v20, v153                              // 000000017EAC: 0B333314
	v_mul_f32_e32 v154, v20, v154                              // 000000017EB0: 0B353514
	v_mul_f32_e32 v155, v20, v155                              // 000000017EB4: 0B373714
	v_mul_f32_e32 v156, v20, v156                              // 000000017EB8: 0B393914
	v_mul_f32_e32 v157, v20, v157                              // 000000017EBC: 0B3B3B14
	v_mul_f32_e32 v158, v20, v158                              // 000000017EC0: 0B3D3D14
	v_mul_f32_e32 v159, v20, v159                              // 000000017EC4: 0B3F3F14
	v_mul_f32_dpp v144, v248, v144 quad_perm:[0,0,0,0] row_mask:0xf bank_mask:0xf// 000000017EC8: 0B2120FA FF0000F8
	v_mul_f32_dpp v145, v248, v145 quad_perm:[1,1,1,1] row_mask:0xf bank_mask:0xf// 000000017ED0: 0B2322FA FF0055F8
	v_mul_f32_dpp v146, v248, v146 quad_perm:[2,2,2,2] row_mask:0xf bank_mask:0xf// 000000017ED8: 0B2524FA FF00AAF8
	v_mul_f32_dpp v147, v248, v147 quad_perm:[3,3,3,3] row_mask:0xf bank_mask:0xf// 000000017EE0: 0B2726FA FF00FFF8
	v_mul_f32_dpp v148, v249, v148 quad_perm:[0,0,0,0] row_mask:0xf bank_mask:0xf// 000000017EE8: 0B2928FA FF0000F9
	v_mul_f32_dpp v149, v249, v149 quad_perm:[1,1,1,1] row_mask:0xf bank_mask:0xf// 000000017EF0: 0B2B2AFA FF0055F9
	v_mul_f32_dpp v150, v249, v150 quad_perm:[2,2,2,2] row_mask:0xf bank_mask:0xf// 000000017EF8: 0B2D2CFA FF00AAF9
	v_mul_f32_dpp v151, v249, v151 quad_perm:[3,3,3,3] row_mask:0xf bank_mask:0xf// 000000017F00: 0B2F2EFA FF00FFF9
	v_mul_f32_dpp v152, v250, v152 quad_perm:[0,0,0,0] row_mask:0xf bank_mask:0xf// 000000017F08: 0B3130FA FF0000FA
	v_mul_f32_dpp v153, v250, v153 quad_perm:[1,1,1,1] row_mask:0xf bank_mask:0xf// 000000017F10: 0B3332FA FF0055FA
	v_mul_f32_dpp v154, v250, v154 quad_perm:[2,2,2,2] row_mask:0xf bank_mask:0xf// 000000017F18: 0B3534FA FF00AAFA
	v_mul_f32_dpp v155, v250, v155 quad_perm:[3,3,3,3] row_mask:0xf bank_mask:0xf// 000000017F20: 0B3736FA FF00FFFA
	v_mul_f32_dpp v156, v251, v156 quad_perm:[0,0,0,0] row_mask:0xf bank_mask:0xf// 000000017F28: 0B3938FA FF0000FB
	v_mul_f32_dpp v157, v251, v157 quad_perm:[1,1,1,1] row_mask:0xf bank_mask:0xf// 000000017F30: 0B3B3AFA FF0055FB
	v_mul_f32_dpp v158, v251, v158 quad_perm:[2,2,2,2] row_mask:0xf bank_mask:0xf// 000000017F38: 0B3D3CFA FF00AAFB
	v_mul_f32_dpp v159, v251, v159 quad_perm:[3,3,3,3] row_mask:0xf bank_mask:0xf// 000000017F40: 0B3F3EFA FF00FFFB
	s_and_b32 s60, s72, 0xff                                   // 000000017F48: 863CFF48 000000FF
	v_mov_b32_e32 v65, s60                                     // 000000017F50: 7E82023C
	v_lshrrev_b32_e32 v240, 4, v0                              // 000000017F54: 21E00084
	v_mul_i32_i24_e32 v240, 4, v240                            // 000000017F58: 0DE1E084
	s_mul_i32 s60, s7, 16                                      // 000000017F5C: 923C9007
	v_add_u32_e32 v240, s60, v240                              // 000000017F60: 69E1E03C
	v_add_u32_e32 v241, 1, v240                                // 000000017F64: 69E3E081
	v_add_u32_e32 v242, 2, v240                                // 000000017F68: 69E5E082
	v_add_u32_e32 v243, 3, v240                                // 000000017F6C: 69E7E083
	v_mov_b32_e32 v64, 0xff800000                              // 000000017F70: 7E8002FF FF800000
	v_cmp_lt_u32_e64 s[40:41], v240, v65                       // 000000017F78: D0C90028 000283F0
	v_add_u32_e32 v240, 64, v240                               // 000000017F80: 69E1E0C0
	s_nop 0                                                    // 000000017F84: BF800000
	v_cndmask_b32_e64 v144, v64, v144, s[40:41]                // 000000017F88: D1000090 00A32140
	v_cmp_lt_u32_e64 s[40:41], v241, v65                       // 000000017F90: D0C90028 000283F1
	v_add_u32_e32 v241, 64, v241                               // 000000017F98: 69E3E2C0
	s_nop 0                                                    // 000000017F9C: BF800000
	v_cndmask_b32_e64 v145, v64, v145, s[40:41]                // 000000017FA0: D1000091 00A32340
	v_cmp_lt_u32_e64 s[40:41], v242, v65                       // 000000017FA8: D0C90028 000283F2
	v_add_u32_e32 v242, 64, v242                               // 000000017FB0: 69E5E4C0
	s_nop 0                                                    // 000000017FB4: BF800000
	v_cndmask_b32_e64 v146, v64, v146, s[40:41]                // 000000017FB8: D1000092 00A32540
	v_cmp_lt_u32_e64 s[40:41], v243, v65                       // 000000017FC0: D0C90028 000283F3
	v_add_u32_e32 v243, 64, v243                               // 000000017FC8: 69E7E6C0
	s_nop 0                                                    // 000000017FCC: BF800000
	v_cndmask_b32_e64 v147, v64, v147, s[40:41]                // 000000017FD0: D1000093 00A32740
	v_cmp_lt_u32_e64 s[40:41], v240, v65                       // 000000017FD8: D0C90028 000283F0
	v_add_u32_e32 v240, 64, v240                               // 000000017FE0: 69E1E0C0
	s_nop 0                                                    // 000000017FE4: BF800000
	v_cndmask_b32_e64 v148, v64, v148, s[40:41]                // 000000017FE8: D1000094 00A32940
	v_cmp_lt_u32_e64 s[40:41], v241, v65                       // 000000017FF0: D0C90028 000283F1
	v_add_u32_e32 v241, 64, v241                               // 000000017FF8: 69E3E2C0
	s_nop 0                                                    // 000000017FFC: BF800000
	v_cndmask_b32_e64 v149, v64, v149, s[40:41]                // 000000018000: D1000095 00A32B40
	v_cmp_lt_u32_e64 s[40:41], v242, v65                       // 000000018008: D0C90028 000283F2
	v_add_u32_e32 v242, 64, v242                               // 000000018010: 69E5E4C0
	s_nop 0                                                    // 000000018014: BF800000
	v_cndmask_b32_e64 v150, v64, v150, s[40:41]                // 000000018018: D1000096 00A32D40
	v_cmp_lt_u32_e64 s[40:41], v243, v65                       // 000000018020: D0C90028 000283F3
	v_add_u32_e32 v243, 64, v243                               // 000000018028: 69E7E6C0
	s_nop 0                                                    // 00000001802C: BF800000
	v_cndmask_b32_e64 v151, v64, v151, s[40:41]                // 000000018030: D1000097 00A32F40
	v_cmp_lt_u32_e64 s[40:41], v240, v65                       // 000000018038: D0C90028 000283F0
	v_add_u32_e32 v240, 64, v240                               // 000000018040: 69E1E0C0
	s_nop 0                                                    // 000000018044: BF800000
	v_cndmask_b32_e64 v152, v64, v152, s[40:41]                // 000000018048: D1000098 00A33140
	v_cmp_lt_u32_e64 s[40:41], v241, v65                       // 000000018050: D0C90028 000283F1
	v_add_u32_e32 v241, 64, v241                               // 000000018058: 69E3E2C0
	s_nop 0                                                    // 00000001805C: BF800000
	v_cndmask_b32_e64 v153, v64, v153, s[40:41]                // 000000018060: D1000099 00A33340
	v_cmp_lt_u32_e64 s[40:41], v242, v65                       // 000000018068: D0C90028 000283F2
	v_add_u32_e32 v242, 64, v242                               // 000000018070: 69E5E4C0
	s_nop 0                                                    // 000000018074: BF800000
	v_cndmask_b32_e64 v154, v64, v154, s[40:41]                // 000000018078: D100009A 00A33540
	v_cmp_lt_u32_e64 s[40:41], v243, v65                       // 000000018080: D0C90028 000283F3
	v_add_u32_e32 v243, 64, v243                               // 000000018088: 69E7E6C0
	s_nop 0                                                    // 00000001808C: BF800000
	v_cndmask_b32_e64 v155, v64, v155, s[40:41]                // 000000018090: D100009B 00A33740
	v_cmp_lt_u32_e64 s[40:41], v240, v65                       // 000000018098: D0C90028 000283F0
	v_add_u32_e32 v240, 64, v240                               // 0000000180A0: 69E1E0C0
	s_nop 0                                                    // 0000000180A4: BF800000
	v_cndmask_b32_e64 v156, v64, v156, s[40:41]                // 0000000180A8: D100009C 00A33940
	v_cmp_lt_u32_e64 s[40:41], v241, v65                       // 0000000180B0: D0C90028 000283F1
	v_add_u32_e32 v241, 64, v241                               // 0000000180B8: 69E3E2C0
	s_nop 0                                                    // 0000000180BC: BF800000
	v_cndmask_b32_e64 v157, v64, v157, s[40:41]                // 0000000180C0: D100009D 00A33B40
	v_cmp_lt_u32_e64 s[40:41], v242, v65                       // 0000000180C8: D0C90028 000283F2
	v_add_u32_e32 v242, 64, v242                               // 0000000180D0: 69E5E4C0
	s_nop 0                                                    // 0000000180D4: BF800000
	v_cndmask_b32_e64 v158, v64, v158, s[40:41]                // 0000000180D8: D100009E 00A33D40
	v_cmp_lt_u32_e64 s[40:41], v243, v65                       // 0000000180E0: D0C90028 000283F3
	v_add_u32_e32 v243, 64, v243                               // 0000000180E8: 69E7E6C0
	s_nop 0                                                    // 0000000180EC: BF800000
	v_cndmask_b32_e64 v159, v64, v159, s[40:41]                // 0000000180F0: D100009F 00A33F40
	v_mov_b32_e32 v48, v144                                    // 0000000180F8: 7E600390
	v_max3_f32 v48, v144, v145, v48                            // 0000000180FC: D1D30030 04C32390
	v_max3_f32 v48, v146, v147, v48                            // 000000018104: D1D30030 04C32792
	v_max3_f32 v48, v148, v149, v48                            // 00000001810C: D1D30030 04C32B94
	v_max3_f32 v48, v150, v151, v48                            // 000000018114: D1D30030 04C32F96
	v_max3_f32 v48, v152, v153, v48                            // 00000001811C: D1D30030 04C33398
	v_max3_f32 v48, v154, v155, v48                            // 000000018124: D1D30030 04C3379A
	v_max3_f32 v48, v156, v157, v48                            // 00000001812C: D1D30030 04C33B9C
	v_max3_f32 v48, v158, v159, v48                            // 000000018134: D1D30030 04C33F9E
	ds_write_b32 v8, v48 offset:16896                          // 00000001813C: D81A4200 00003008
	v_mul_f32_e32 v224, v51, v224                              // 000000018144: 0BC1C133
	v_mul_f32_e32 v225, v51, v225                              // 000000018148: 0BC3C333
	v_mul_f32_e32 v226, v51, v226                              // 00000001814C: 0BC5C533
	v_mul_f32_e32 v227, v51, v227                              // 000000018150: 0BC7C733
	v_mul_f32_e32 v228, v51, v228                              // 000000018154: 0BC9C933
	v_mul_f32_e32 v229, v51, v229                              // 000000018158: 0BCBCB33
	v_mul_f32_e32 v230, v51, v230                              // 00000001815C: 0BCDCD33
	v_mul_f32_e32 v231, v51, v231                              // 000000018160: 0BCFCF33
	s_waitcnt lgkmcnt(0)                                       // 000000018164: BF8CC07F
	s_barrier                                                  // 000000018168: BF8A0000
	ds_read_b32 v64, v7 offset:16896                           // 00000001816C: D86C4200 40000007
	ds_read_b32 v65, v7 offset:16960                           // 000000018174: D86C4240 41000007
	ds_read_b32 v66, v7 offset:17024                           // 00000001817C: D86C4280 42000007
	ds_read_b32 v67, v7 offset:17088                           // 000000018184: D86C42C0 43000007
	ds_read_b32 v68, v7 offset:17152                           // 00000001818C: D86C4300 44000007
	ds_read_b32 v69, v7 offset:17216                           // 000000018194: D86C4340 45000007
	ds_read_b32 v70, v7 offset:17280                           // 00000001819C: D86C4380 46000007
	ds_read_b32 v71, v7 offset:17344                           // 0000000181A4: D86C43C0 47000007
	ds_read_b32 v72, v7 offset:17408                           // 0000000181AC: D86C4400 48000007
	ds_read_b32 v73, v7 offset:17472                           // 0000000181B4: D86C4440 49000007
	ds_read_b32 v74, v7 offset:17536                           // 0000000181BC: D86C4480 4A000007
	ds_read_b32 v75, v7 offset:17600                           // 0000000181C4: D86C44C0 4B000007
	ds_read_b32 v76, v7 offset:17664                           // 0000000181CC: D86C4500 4C000007
	ds_read_b32 v77, v7 offset:17728                           // 0000000181D4: D86C4540 4D000007
	ds_read_b32 v78, v7 offset:17792                           // 0000000181DC: D86C4580 4E000007
	ds_read_b32 v79, v7 offset:17856                           // 0000000181E4: D86C45C0 4F000007
	v_mul_f32_e32 v192, v46, v192                              // 0000000181EC: 0B81812E
	v_mul_f32_e32 v193, v46, v193                              // 0000000181F0: 0B83832E
	v_mul_f32_e32 v194, v46, v194                              // 0000000181F4: 0B85852E
	v_mul_f32_e32 v195, v46, v195                              // 0000000181F8: 0B87872E
	v_mul_f32_e32 v196, v46, v196                              // 0000000181FC: 0B89892E
	v_mul_f32_e32 v197, v46, v197                              // 000000018200: 0B8B8B2E
	v_mul_f32_e32 v198, v46, v198                              // 000000018204: 0B8D8D2E
	v_mul_f32_e32 v199, v46, v199                              // 000000018208: 0B8F8F2E
	s_waitcnt lgkmcnt(0)                                       // 00000001820C: BF8CC07F
	v_max3_f32 v48, v64, v65, v48                              // 000000018210: D1D30030 04C28340
	v_max3_f32 v48, v66, v67, v48                              // 000000018218: D1D30030 04C28742
	v_max3_f32 v48, v68, v69, v48                              // 000000018220: D1D30030 04C28B44
	v_max3_f32 v48, v70, v71, v48                              // 000000018228: D1D30030 04C28F46
	v_max3_f32 v48, v72, v73, v48                              // 000000018230: D1D30030 04C29348
	v_max3_f32 v48, v74, v75, v48                              // 000000018238: D1D30030 04C2974A
	v_max3_f32 v48, v76, v77, v48                              // 000000018240: D1D30030 04C29B4C
	v_max3_f32 v48, v78, v79, v48                              // 000000018248: D1D30030 04C29F4E
	v_mov_b32_e32 v64, 0xff800000                              // 000000018250: 7E8002FF FF800000
	v_cmp_eq_u32_e64 s[40:41], v64, v13                        // 000000018258: D0CA0028 00021B40
	s_nop 1                                                    // 000000018260: BF800001
	v_max_f32_e32 v15, v48, v13                                // 000000018264: 161E1B30
	v_mul_f32_e32 v53, s64, v15                                // 000000018268: 0A6A1E40
	v_fma_f32 v144, v144, s64, -v53                            // 00000001826C: D1CB0090 84D48190
	v_fma_f32 v145, v145, s64, -v53                            // 000000018274: D1CB0091 84D48191
	v_fma_f32 v146, v146, s64, -v53                            // 00000001827C: D1CB0092 84D48192
	v_fma_f32 v147, v147, s64, -v53                            // 000000018284: D1CB0093 84D48193
	v_fma_f32 v148, v148, s64, -v53                            // 00000001828C: D1CB0094 84D48194
	v_fma_f32 v149, v149, s64, -v53                            // 000000018294: D1CB0095 84D48195
	v_fma_f32 v150, v150, s64, -v53                            // 00000001829C: D1CB0096 84D48196
	v_fma_f32 v151, v151, s64, -v53                            // 0000000182A4: D1CB0097 84D48197
	v_fma_f32 v152, v152, s64, -v53                            // 0000000182AC: D1CB0098 84D48198
	v_fma_f32 v153, v153, s64, -v53                            // 0000000182B4: D1CB0099 84D48199
	v_fma_f32 v154, v154, s64, -v53                            // 0000000182BC: D1CB009A 84D4819A
	v_fma_f32 v155, v155, s64, -v53                            // 0000000182C4: D1CB009B 84D4819B
	v_fma_f32 v156, v156, s64, -v53                            // 0000000182CC: D1CB009C 84D4819C
	v_fma_f32 v157, v157, s64, -v53                            // 0000000182D4: D1CB009D 84D4819D
	v_fma_f32 v158, v158, s64, -v53                            // 0000000182DC: D1CB009E 84D4819E
	v_fma_f32 v159, v159, s64, -v53                            // 0000000182E4: D1CB009F 84D4819F
	v_exp_f32_e32 v144, v144                                   // 0000000182EC: 7F204190
	v_exp_f32_e32 v145, v145                                   // 0000000182F0: 7F224191
	v_exp_f32_e32 v146, v146                                   // 0000000182F4: 7F244192
	v_exp_f32_e32 v147, v147                                   // 0000000182F8: 7F264193
	v_exp_f32_e32 v148, v148                                   // 0000000182FC: 7F284194
	v_exp_f32_e32 v149, v149                                   // 000000018300: 7F2A4195
	v_exp_f32_e32 v150, v150                                   // 000000018304: 7F2C4196
	v_exp_f32_e32 v151, v151                                   // 000000018308: 7F2E4197
	v_exp_f32_e32 v152, v152                                   // 00000001830C: 7F304198
	v_exp_f32_e32 v153, v153                                   // 000000018310: 7F324199
	v_exp_f32_e32 v154, v154                                   // 000000018314: 7F34419A
	v_exp_f32_e32 v155, v155                                   // 000000018318: 7F36419B
	v_exp_f32_e32 v156, v156                                   // 00000001831C: 7F38419C
	v_exp_f32_e32 v157, v157                                   // 000000018320: 7F3A419D
	v_exp_f32_e32 v158, v158                                   // 000000018324: 7F3C419E
	v_exp_f32_e32 v159, v159                                   // 000000018328: 7F3E419F
	v_mul_f32_dpp v240, v252, v144 quad_perm:[0,0,0,0] row_mask:0xf bank_mask:0xf// 00000001832C: 0BE120FA FF0000FC
	v_mul_f32_dpp v241, v252, v145 quad_perm:[1,1,1,1] row_mask:0xf bank_mask:0xf// 000000018334: 0BE322FA FF0055FC
	v_mul_f32_dpp v242, v252, v146 quad_perm:[2,2,2,2] row_mask:0xf bank_mask:0xf// 00000001833C: 0BE524FA FF00AAFC
	v_mul_f32_dpp v243, v252, v147 quad_perm:[3,3,3,3] row_mask:0xf bank_mask:0xf// 000000018344: 0BE726FA FF00FFFC
	v_mul_f32_dpp v244, v253, v148 quad_perm:[0,0,0,0] row_mask:0xf bank_mask:0xf// 00000001834C: 0BE928FA FF0000FD
	v_mul_f32_dpp v245, v253, v149 quad_perm:[1,1,1,1] row_mask:0xf bank_mask:0xf// 000000018354: 0BEB2AFA FF0055FD
	v_mul_f32_dpp v246, v253, v150 quad_perm:[2,2,2,2] row_mask:0xf bank_mask:0xf// 00000001835C: 0BED2CFA FF00AAFD
	v_mul_f32_dpp v247, v253, v151 quad_perm:[3,3,3,3] row_mask:0xf bank_mask:0xf// 000000018364: 0BEF2EFA FF00FFFD
	v_mul_f32_dpp v248, v254, v152 quad_perm:[0,0,0,0] row_mask:0xf bank_mask:0xf// 00000001836C: 0BF130FA FF0000FE
	v_mul_f32_dpp v249, v254, v153 quad_perm:[1,1,1,1] row_mask:0xf bank_mask:0xf// 000000018374: 0BF332FA FF0055FE
	v_mul_f32_dpp v250, v254, v154 quad_perm:[2,2,2,2] row_mask:0xf bank_mask:0xf// 00000001837C: 0BF534FA FF00AAFE
	v_mul_f32_dpp v251, v254, v155 quad_perm:[3,3,3,3] row_mask:0xf bank_mask:0xf// 000000018384: 0BF736FA FF00FFFE
	v_mul_f32_dpp v252, v255, v156 quad_perm:[0,0,0,0] row_mask:0xf bank_mask:0xf// 00000001838C: 0BF938FA FF0000FF
	v_mul_f32_dpp v253, v255, v157 quad_perm:[1,1,1,1] row_mask:0xf bank_mask:0xf// 000000018394: 0BFB3AFA FF0055FF
	v_mul_f32_dpp v254, v255, v158 quad_perm:[2,2,2,2] row_mask:0xf bank_mask:0xf// 00000001839C: 0BFD3CFA FF00AAFF
	v_mul_f32_dpp v255, v255, v159 quad_perm:[3,3,3,3] row_mask:0xf bank_mask:0xf// 0000000183A4: 0BFF3EFA FF00FFFF
	v_mov_b32_e32 v48, 0x358637bd                              // 0000000183AC: 7E6002FF 358637BD
	v_max3_f32 v48, |v240|, |v241|, v48                        // 0000000183B4: D1D30330 04C3E3F0
	v_max3_f32 v48, |v242|, |v243|, v48                        // 0000000183BC: D1D30330 04C3E7F2
	v_max3_f32 v48, |v244|, |v245|, v48                        // 0000000183C4: D1D30330 04C3EBF4
	v_max3_f32 v48, |v246|, |v247|, v48                        // 0000000183CC: D1D30330 04C3EFF6
	v_max3_f32 v48, |v248|, |v249|, v48                        // 0000000183D4: D1D30330 04C3F3F8
	v_max3_f32 v48, |v250|, |v251|, v48                        // 0000000183DC: D1D30330 04C3F7FA
	v_max3_f32 v48, |v252|, |v253|, v48                        // 0000000183E4: D1D30330 04C3FBFC
	v_max3_f32 v48, |v254|, |v255|, v48                        // 0000000183EC: D1D30330 04C3FFFE
	ds_write_b32 v8, v48 offset:20992                          // 0000000183F4: D81A5200 00003008
	v_sub_f32_e32 v51, v13, v15                                // 0000000183FC: 04661F0D
	v_cndmask_b32_e64 v51, v51, 0, s[40:41]                    // 000000018400: D1000033 00A10133
	v_mov_b32_e32 v13, v15                                     // 000000018408: 7E1A030F
	v_mul_f32_e32 v51, s64, v51                                // 00000001840C: 0A666640
	v_exp_f32_e32 v51, v51                                     // 000000018410: 7E664133
	s_waitcnt lgkmcnt(0)                                       // 000000018414: BF8CC07F
	s_barrier                                                  // 000000018418: BF8A0000
	ds_read_b32 v64, v7 offset:20992                           // 00000001841C: D86C5200 40000007
	ds_read_b32 v65, v7 offset:21056                           // 000000018424: D86C5240 41000007
	ds_read_b32 v66, v7 offset:21120                           // 00000001842C: D86C5280 42000007
	ds_read_b32 v67, v7 offset:21184                           // 000000018434: D86C52C0 43000007
	ds_read_b32 v68, v7 offset:21248                           // 00000001843C: D86C5300 44000007
	ds_read_b32 v69, v7 offset:21312                           // 000000018444: D86C5340 45000007
	ds_read_b32 v70, v7 offset:21376                           // 00000001844C: D86C5380 46000007
	ds_read_b32 v71, v7 offset:21440                           // 000000018454: D86C53C0 47000007
	ds_read_b32 v72, v7 offset:21504                           // 00000001845C: D86C5400 48000007
	ds_read_b32 v73, v7 offset:21568                           // 000000018464: D86C5440 49000007
	ds_read_b32 v74, v7 offset:21632                           // 00000001846C: D86C5480 4A000007
	ds_read_b32 v75, v7 offset:21696                           // 000000018474: D86C54C0 4B000007
	ds_read_b32 v76, v7 offset:21760                           // 00000001847C: D86C5500 4C000007
	ds_read_b32 v77, v7 offset:21824                           // 000000018484: D86C5540 4D000007
	ds_read_b32 v78, v7 offset:21888                           // 00000001848C: D86C5580 4E000007
	ds_read_b32 v79, v7 offset:21952                           // 000000018494: D86C55C0 4F000007
	v_mul_f32_e32 v40, v51, v40                                // 00000001849C: 0A505133
	v_mov_b32_e32 v15, v144                                    // 0000000184A0: 7E1E0390
	v_add_f32_e32 v15, v145, v15                               // 0000000184A4: 021E1F91
	v_add_f32_e32 v15, v146, v15                               // 0000000184A8: 021E1F92
	v_add_f32_e32 v15, v147, v15                               // 0000000184AC: 021E1F93
	v_add_f32_e32 v15, v148, v15                               // 0000000184B0: 021E1F94
	v_add_f32_e32 v15, v149, v15                               // 0000000184B4: 021E1F95
	v_add_f32_e32 v15, v150, v15                               // 0000000184B8: 021E1F96
	v_add_f32_e32 v15, v151, v15                               // 0000000184BC: 021E1F97
	v_add_f32_e32 v15, v152, v15                               // 0000000184C0: 021E1F98
	v_add_f32_e32 v15, v153, v15                               // 0000000184C4: 021E1F99
	v_add_f32_e32 v15, v154, v15                               // 0000000184C8: 021E1F9A
	v_add_f32_e32 v15, v155, v15                               // 0000000184CC: 021E1F9B
	v_add_f32_e32 v15, v156, v15                               // 0000000184D0: 021E1F9C
	v_add_f32_e32 v15, v157, v15                               // 0000000184D4: 021E1F9D
	v_add_f32_e32 v15, v158, v15                               // 0000000184D8: 021E1F9E
	v_add_f32_e32 v15, v159, v15                               // 0000000184DC: 021E1F9F
	v_add_f32_e32 v40, v15, v40                                // 0000000184E0: 0250510F
	s_waitcnt lgkmcnt(0)                                       // 0000000184E4: BF8CC07F
	v_max3_f32 v48, |v64|, |v65|, v48                          // 0000000184E8: D1D30330 04C28340
	v_max3_f32 v48, |v66|, |v67|, v48                          // 0000000184F0: D1D30330 04C28742
	v_max3_f32 v48, |v68|, |v69|, v48                          // 0000000184F8: D1D30330 04C28B44
	v_max3_f32 v48, |v70|, |v71|, v48                          // 000000018500: D1D30330 04C28F46
	v_max3_f32 v48, |v72|, |v73|, v48                          // 000000018508: D1D30330 04C29348
	v_max3_f32 v48, |v74|, |v75|, v48                          // 000000018510: D1D30330 04C2974A
	v_max3_f32 v48, |v76|, |v77|, v48                          // 000000018518: D1D30330 04C29B4C
	v_max3_f32 v48, |v78|, |v79|, v48                          // 000000018520: D1D30330 04C29F4E
	s_nop 2                                                    // 000000018528: BF800002
	v_rcp_f32_e32 v48, v48                                     // 00000001852C: 7E604530
	s_nop 1                                                    // 000000018530: BF800001
	v_mul_f32_e32 v48, 0x43e00000, v48                         // 000000018534: 0A6060FF 43E00000
	v_mul_f32_e32 v144, v48, v240                              // 00000001853C: 0B21E130
	v_mul_f32_e32 v145, v48, v241                              // 000000018540: 0B23E330
	v_mul_f32_e32 v146, v48, v242                              // 000000018544: 0B25E530
	v_mul_f32_e32 v147, v48, v243                              // 000000018548: 0B27E730
	v_mul_f32_e32 v148, v48, v244                              // 00000001854C: 0B29E930
	v_mul_f32_e32 v149, v48, v245                              // 000000018550: 0B2BEB30
	v_mul_f32_e32 v150, v48, v246                              // 000000018554: 0B2DED30
	v_mul_f32_e32 v151, v48, v247                              // 000000018558: 0B2FEF30
	v_mul_f32_e32 v152, v48, v248                              // 00000001855C: 0B31F130
	v_mul_f32_e32 v153, v48, v249                              // 000000018560: 0B33F330
	v_mul_f32_e32 v154, v48, v250                              // 000000018564: 0B35F530
	v_mul_f32_e32 v155, v48, v251                              // 000000018568: 0B37F730
	v_mul_f32_e32 v156, v48, v252                              // 00000001856C: 0B39F930
	v_mul_f32_e32 v157, v48, v253                              // 000000018570: 0B3BFB30
	v_mul_f32_e32 v158, v48, v254                              // 000000018574: 0B3DFD30
	v_mul_f32_e32 v159, v48, v255                              // 000000018578: 0B3FFF30
	v_cvt_pk_fp8_f32 v144, v144, v145                          // 00000001857C: D2A20090 00032390
	v_cvt_pk_fp8_f32 v144, v146, v147 op_sel:[0,0,1]           // 000000018584: D2A24090 00032792
	v_cvt_pk_fp8_f32 v145, v148, v149                          // 00000001858C: D2A20091 00032B94
	v_cvt_pk_fp8_f32 v145, v150, v151 op_sel:[0,0,1]           // 000000018594: D2A24091 00032F96
	v_cvt_pk_fp8_f32 v146, v152, v153                          // 00000001859C: D2A20092 00033398
	v_cvt_pk_fp8_f32 v146, v154, v155 op_sel:[0,0,1]           // 0000000185A4: D2A24092 0003379A
	v_cvt_pk_fp8_f32 v147, v156, v157                          // 0000000185AC: D2A20093 00033B9C
	v_cvt_pk_fp8_f32 v147, v158, v159 op_sel:[0,0,1]           // 0000000185B4: D2A24093 00033F9E
	ds_write_b32 v10, v144 offset:33280                        // 0000000185BC: D81A8200 0000900A
	ds_write_b32 v10, v145 offset:34304                        // 0000000185C4: D81A8600 0000910A
	ds_write_b32 v10, v146 offset:35328                        // 0000000185CC: D81A8A00 0000920A
	ds_write_b32 v10, v147 offset:36352                        // 0000000185D4: D81A8E00 0000930A
	v_add_f32_e32 v224, v224, v192                             // 0000000185DC: 03C181E0
	v_add_f32_e32 v225, v225, v193                             // 0000000185E0: 03C383E1
	v_add_f32_e32 v226, v226, v194                             // 0000000185E4: 03C585E2
	v_add_f32_e32 v227, v227, v195                             // 0000000185E8: 03C787E3
	v_add_f32_e32 v228, v228, v196                             // 0000000185EC: 03C989E4
	v_add_f32_e32 v229, v229, v197                             // 0000000185F0: 03CB8BE5
	v_add_f32_e32 v230, v230, v198                             // 0000000185F4: 03CD8DE6
	v_add_f32_e32 v231, v231, v199                             // 0000000185F8: 03CF8FE7
	v_rcp_f32_e32 v46, v48                                     // 0000000185FC: 7E5C4530
	s_waitcnt lgkmcnt(0)                                       // 000000018600: BF8CC07F
	s_barrier                                                  // 000000018604: BF8A0000
	ds_read_b64 v[144:145], v9 offset:33280                    // 000000018608: D8EC8200 90000009
	ds_read_b64 v[146:147], v9 offset:33408                    // 000000018610: D8EC8280 92000009
	ds_read_b64 v[148:149], v9 offset:34304                    // 000000018618: D8EC8600 94000009
	ds_read_b64 v[150:151], v9 offset:34432                    // 000000018620: D8EC8680 96000009
	ds_read_b64 v[152:153], v9 offset:35328                    // 000000018628: D8EC8A00 98000009
	ds_read_b64 v[154:155], v9 offset:35456                    // 000000018630: D8EC8A80 9A000009
	ds_read_b64 v[156:157], v9 offset:36352                    // 000000018638: D8EC8E00 9C000009
	ds_read_b64 v[158:159], v9 offset:36480                    // 000000018640: D8EC8E80 9E000009
	s_waitcnt vmcnt(0)                                         // 000000018648: BF8C0F70
	s_barrier                                                  // 00000001864C: BF8A0000
	v_mfma_f32_16x16x32_fp8_fp8 v[176:179], a[96:97], v[112:113], 0// 000000018650: D3F300B0 0A02E160
	v_mfma_f32_16x16x32_fp8_fp8 v[176:179], a[98:99], v[114:115], v[176:179]// 000000018658: D3F300B0 0EC2E562
	v_mfma_f32_16x16x32_fp8_fp8 v[176:179], a[100:101], v[116:117], v[176:179]// 000000018660: D3F300B0 0EC2E964
	v_mfma_f32_16x16x32_fp8_fp8 v[176:179], a[102:103], v[118:119], v[176:179]// 000000018668: D3F300B0 0EC2ED66
	v_mfma_f32_16x16x32_fp8_fp8 v[176:179], a[104:105], v[120:121], v[176:179]// 000000018670: D3F300B0 0EC2F168
	v_mfma_f32_16x16x32_fp8_fp8 v[176:179], a[106:107], v[122:123], v[176:179]// 000000018678: D3F300B0 0EC2F56A
	v_mfma_f32_16x16x32_fp8_fp8 v[176:179], a[108:109], v[124:125], v[176:179]// 000000018680: D3F300B0 0EC2F96C
	v_mfma_f32_16x16x32_fp8_fp8 v[176:179], a[110:111], v[126:127], v[176:179]// 000000018688: D3F300B0 0EC2FD6E
	v_mfma_f32_16x16x32_fp8_fp8 v[180:183], a[112:113], v[112:113], 0// 000000018690: D3F300B4 0A02E170
	v_mfma_f32_16x16x32_fp8_fp8 v[180:183], a[114:115], v[114:115], v[180:183]// 000000018698: D3F300B4 0ED2E572
	v_mfma_f32_16x16x32_fp8_fp8 v[180:183], a[116:117], v[116:117], v[180:183]// 0000000186A0: D3F300B4 0ED2E974
	v_mfma_f32_16x16x32_fp8_fp8 v[180:183], a[118:119], v[118:119], v[180:183]// 0000000186A8: D3F300B4 0ED2ED76
	v_mfma_f32_16x16x32_fp8_fp8 v[180:183], a[120:121], v[120:121], v[180:183]// 0000000186B0: D3F300B4 0ED2F178
	v_mfma_f32_16x16x32_fp8_fp8 v[180:183], a[122:123], v[122:123], v[180:183]// 0000000186B8: D3F300B4 0ED2F57A
	v_mfma_f32_16x16x32_fp8_fp8 v[180:183], a[124:125], v[124:125], v[180:183]// 0000000186C0: D3F300B4 0ED2F97C
	v_mfma_f32_16x16x32_fp8_fp8 v[180:183], a[126:127], v[126:127], v[180:183]// 0000000186C8: D3F300B4 0ED2FD7E
	v_mfma_f32_16x16x32_fp8_fp8 v[184:187], a[96:97], v[128:129], 0// 0000000186D0: D3F300B8 0A030160
	v_mfma_f32_16x16x32_fp8_fp8 v[184:187], a[98:99], v[130:131], v[184:187]// 0000000186D8: D3F300B8 0EE30562
	v_mfma_f32_16x16x32_fp8_fp8 v[184:187], a[100:101], v[132:133], v[184:187]// 0000000186E0: D3F300B8 0EE30964
	v_mfma_f32_16x16x32_fp8_fp8 v[184:187], a[102:103], v[134:135], v[184:187]// 0000000186E8: D3F300B8 0EE30D66
	v_mfma_f32_16x16x32_fp8_fp8 v[184:187], a[104:105], v[136:137], v[184:187]// 0000000186F0: D3F300B8 0EE31168
	v_mfma_f32_16x16x32_fp8_fp8 v[184:187], a[106:107], v[138:139], v[184:187]// 0000000186F8: D3F300B8 0EE3156A
	v_mfma_f32_16x16x32_fp8_fp8 v[184:187], a[108:109], v[140:141], v[184:187]// 000000018700: D3F300B8 0EE3196C
	v_mfma_f32_16x16x32_fp8_fp8 v[184:187], a[110:111], v[142:143], v[184:187]// 000000018708: D3F300B8 0EE31D6E
	v_mfma_f32_16x16x32_fp8_fp8 v[188:191], a[112:113], v[128:129], 0// 000000018710: D3F300BC 0A030170
	v_mfma_f32_16x16x32_fp8_fp8 v[188:191], a[114:115], v[130:131], v[188:191]// 000000018718: D3F300BC 0EF30572
	v_mfma_f32_16x16x32_fp8_fp8 v[188:191], a[116:117], v[132:133], v[188:191]// 000000018720: D3F300BC 0EF30974
	v_mfma_f32_16x16x32_fp8_fp8 v[188:191], a[118:119], v[134:135], v[188:191]// 000000018728: D3F300BC 0EF30D76
	v_mfma_f32_16x16x32_fp8_fp8 v[188:191], a[120:121], v[136:137], v[188:191]// 000000018730: D3F300BC 0EF31178
	v_mfma_f32_16x16x32_fp8_fp8 v[188:191], a[122:123], v[138:139], v[188:191]// 000000018738: D3F300BC 0EF3157A
	v_mfma_f32_16x16x32_fp8_fp8 v[188:191], a[124:125], v[140:141], v[188:191]// 000000018740: D3F300BC 0EF3197C
	v_mfma_f32_16x16x32_fp8_fp8 v[188:191], a[126:127], v[142:143], v[188:191]// 000000018748: D3F300BC 0EF31D7E
	v_mfma_f32_16x16x32_fp8_fp8 v[192:195], a[96:97], v[144:145], 0// 000000018750: D3F300C0 0A032160
	v_mfma_f32_16x16x32_fp8_fp8 v[192:195], a[98:99], v[146:147], v[192:195]// 000000018758: D3F300C0 0F032562
	v_mfma_f32_16x16x32_fp8_fp8 v[192:195], a[100:101], v[148:149], v[192:195]// 000000018760: D3F300C0 0F032964
	v_mfma_f32_16x16x32_fp8_fp8 v[192:195], a[102:103], v[150:151], v[192:195]// 000000018768: D3F300C0 0F032D66
	v_mfma_f32_16x16x32_fp8_fp8 v[192:195], a[104:105], v[152:153], v[192:195]// 000000018770: D3F300C0 0F033168
	v_mfma_f32_16x16x32_fp8_fp8 v[192:195], a[106:107], v[154:155], v[192:195]// 000000018778: D3F300C0 0F03356A
	v_mfma_f32_16x16x32_fp8_fp8 v[192:195], a[108:109], v[156:157], v[192:195]// 000000018780: D3F300C0 0F03396C
	v_mfma_f32_16x16x32_fp8_fp8 v[192:195], a[110:111], v[158:159], v[192:195]// 000000018788: D3F300C0 0F033D6E
	v_mfma_f32_16x16x32_fp8_fp8 v[196:199], a[112:113], v[144:145], 0// 000000018790: D3F300C4 0A032170
	v_mfma_f32_16x16x32_fp8_fp8 v[196:199], a[114:115], v[146:147], v[196:199]// 000000018798: D3F300C4 0F132572
	v_mfma_f32_16x16x32_fp8_fp8 v[196:199], a[116:117], v[148:149], v[196:199]// 0000000187A0: D3F300C4 0F132974
	v_mfma_f32_16x16x32_fp8_fp8 v[196:199], a[118:119], v[150:151], v[196:199]// 0000000187A8: D3F300C4 0F132D76
	v_mfma_f32_16x16x32_fp8_fp8 v[196:199], a[120:121], v[152:153], v[196:199]// 0000000187B0: D3F300C4 0F133178
	v_mfma_f32_16x16x32_fp8_fp8 v[196:199], a[122:123], v[154:155], v[196:199]// 0000000187B8: D3F300C4 0F13357A
	v_mfma_f32_16x16x32_fp8_fp8 v[196:199], a[124:125], v[156:157], v[196:199]// 0000000187C0: D3F300C4 0F13397C
	v_mfma_f32_16x16x32_fp8_fp8 v[196:199], a[126:127], v[158:159], v[196:199]// 0000000187C8: D3F300C4 0F133D7E
	s_nop 4                                                    // 0000000187D0: BF800004
	s_branch label_5976                                        // 0000000187D4: BF820000

00000000000187d8 <label_5976>:
	v_mul_f32_e32 v208, v49, v208                              // 0000000187D8: 0BA1A131
	v_mul_f32_e32 v209, v49, v209                              // 0000000187DC: 0BA3A331
	v_mul_f32_e32 v210, v49, v210                              // 0000000187E0: 0BA5A531
	v_mul_f32_e32 v211, v49, v211                              // 0000000187E4: 0BA7A731
	v_mul_f32_e32 v212, v49, v212                              // 0000000187E8: 0BA9A931
	v_mul_f32_e32 v213, v49, v213                              // 0000000187EC: 0BABAB31
	v_mul_f32_e32 v214, v49, v214                              // 0000000187F0: 0BADAD31
	v_mul_f32_e32 v215, v49, v215                              // 0000000187F4: 0BAFAF31
	v_mul_f32_e32 v176, v44, v176                              // 0000000187F8: 0B61612C
	v_mul_f32_e32 v177, v44, v177                              // 0000000187FC: 0B63632C
	v_mul_f32_e32 v178, v44, v178                              // 000000018800: 0B65652C
	v_mul_f32_e32 v179, v44, v179                              // 000000018804: 0B67672C
	v_mul_f32_e32 v180, v44, v180                              // 000000018808: 0B69692C
	v_mul_f32_e32 v181, v44, v181                              // 00000001880C: 0B6B6B2C
	v_mul_f32_e32 v182, v44, v182                              // 000000018810: 0B6D6D2C
	v_mul_f32_e32 v183, v44, v183                              // 000000018814: 0B6F6F2C
	v_add_f32_e32 v208, v208, v176                             // 000000018818: 03A161D0
	v_add_f32_e32 v209, v209, v177                             // 00000001881C: 03A363D1
	v_add_f32_e32 v210, v210, v178                             // 000000018820: 03A565D2
	v_add_f32_e32 v211, v211, v179                             // 000000018824: 03A767D3
	v_add_f32_e32 v212, v212, v180                             // 000000018828: 03A969D4
	v_add_f32_e32 v213, v213, v181                             // 00000001882C: 03AB6BD5
	v_add_f32_e32 v214, v214, v182                             // 000000018830: 03AD6DD6
	v_add_f32_e32 v215, v215, v183                             // 000000018834: 03AF6FD7
	ds_write_b32 v8, v38 offset:16896                          // 000000018838: D81A4200 00002608
	s_waitcnt lgkmcnt(0)                                       // 000000018840: BF8CC07F
	s_barrier                                                  // 000000018844: BF8A0000
	ds_read_b32 v64, v7 offset:16896                           // 000000018848: D86C4200 40000007
	ds_read_b32 v65, v7 offset:16960                           // 000000018850: D86C4240 41000007
	ds_read_b32 v66, v7 offset:17024                           // 000000018858: D86C4280 42000007
	ds_read_b32 v67, v7 offset:17088                           // 000000018860: D86C42C0 43000007
	ds_read_b32 v68, v7 offset:17152                           // 000000018868: D86C4300 44000007
	ds_read_b32 v69, v7 offset:17216                           // 000000018870: D86C4340 45000007
	ds_read_b32 v70, v7 offset:17280                           // 000000018878: D86C4380 46000007
	ds_read_b32 v71, v7 offset:17344                           // 000000018880: D86C43C0 47000007
	ds_read_b32 v72, v7 offset:17408                           // 000000018888: D86C4400 48000007
	ds_read_b32 v73, v7 offset:17472                           // 000000018890: D86C4440 49000007
	ds_read_b32 v74, v7 offset:17536                           // 000000018898: D86C4480 4A000007
	ds_read_b32 v75, v7 offset:17600                           // 0000000188A0: D86C44C0 4B000007
	ds_read_b32 v76, v7 offset:17664                           // 0000000188A8: D86C4500 4C000007
	ds_read_b32 v77, v7 offset:17728                           // 0000000188B0: D86C4540 4D000007
	ds_read_b32 v78, v7 offset:17792                           // 0000000188B8: D86C4580 4E000007
	ds_read_b32 v79, v7 offset:17856                           // 0000000188C0: D86C45C0 4F000007
	s_waitcnt lgkmcnt(0)                                       // 0000000188C8: BF8CC07F
	v_mov_b32_e32 v38, 0                                       // 0000000188CC: 7E4C0280
	v_add_f32_e32 v38, v64, v38                                // 0000000188D0: 024C4D40
	v_add_f32_e32 v38, v65, v38                                // 0000000188D4: 024C4D41
	v_add_f32_e32 v38, v66, v38                                // 0000000188D8: 024C4D42
	v_add_f32_e32 v38, v67, v38                                // 0000000188DC: 024C4D43
	v_add_f32_e32 v38, v68, v38                                // 0000000188E0: 024C4D44
	v_add_f32_e32 v38, v69, v38                                // 0000000188E4: 024C4D45
	v_add_f32_e32 v38, v70, v38                                // 0000000188E8: 024C4D46
	v_add_f32_e32 v38, v71, v38                                // 0000000188EC: 024C4D47
	v_add_f32_e32 v38, v72, v38                                // 0000000188F0: 024C4D48
	v_add_f32_e32 v38, v73, v38                                // 0000000188F4: 024C4D49
	v_add_f32_e32 v38, v74, v38                                // 0000000188F8: 024C4D4A
	v_add_f32_e32 v38, v75, v38                                // 0000000188FC: 024C4D4B
	v_add_f32_e32 v38, v76, v38                                // 000000018900: 024C4D4C
	v_add_f32_e32 v38, v77, v38                                // 000000018904: 024C4D4D
	v_add_f32_e32 v38, v78, v38                                // 000000018908: 024C4D4E
	v_add_f32_e32 v38, v79, v38                                // 00000001890C: 024C4D4F
	s_nop 1                                                    // 000000018910: BF800001
	v_rcp_f32_e32 v38, v38                                     // 000000018914: 7E4C4526
	s_nop 1                                                    // 000000018918: BF800001
	v_mul_f32_e32 v208, v38, v208                              // 00000001891C: 0BA1A126
	v_mul_f32_e32 v209, v38, v209                              // 000000018920: 0BA3A326
	v_mul_f32_e32 v210, v38, v210                              // 000000018924: 0BA5A526
	v_mul_f32_e32 v211, v38, v211                              // 000000018928: 0BA7A726
	v_mul_f32_e32 v212, v38, v212                              // 00000001892C: 0BA9A926
	v_mul_f32_e32 v213, v38, v213                              // 000000018930: 0BABAB26
	v_mul_f32_e32 v214, v38, v214                              // 000000018934: 0BADAD26
	v_mul_f32_e32 v215, v38, v215                              // 000000018938: 0BAFAF26
	v_mov_b32_e32 v19, 0xffff0000                              // 00000001893C: 7E2602FF FFFF0000
	v_mov_b32_e32 v20, 0x7fff0000                              // 000000018944: 7E2802FF 7FFF0000
	v_mov_b32_e32 v21, 0x7fff                                  // 00000001894C: 7E2A02FF 00007FFF
	v_cmp_u_f32_e64 s[40:41], v208, v208                       // 000000018954: D0480028 0003A1D0
	v_add3_u32 v18, v208, v21, 1                               // 00000001895C: D1FF0012 02062BD0
	v_cndmask_b32_e64 v64, v18, v20, s[40:41]                  // 000000018964: D1000040 00A22912
	v_cmp_u_f32_e64 s[40:41], v209, v209                       // 00000001896C: D0480028 0003A3D1
	v_add3_u32 v18, v209, v21, 1                               // 000000018974: D1FF0012 02062BD1
	v_cndmask_b32_e64 v65, v18, v20, s[40:41]                  // 00000001897C: D1000041 00A22912
	v_perm_b32 v208, v65, v64, s52                             // 000000018984: D1ED00D0 00D28141
	v_cmp_u_f32_e64 s[40:41], v210, v210                       // 00000001898C: D0480028 0003A5D2
	v_add3_u32 v18, v210, v21, 1                               // 000000018994: D1FF0012 02062BD2
	v_cndmask_b32_e64 v64, v18, v20, s[40:41]                  // 00000001899C: D1000040 00A22912
	v_cmp_u_f32_e64 s[40:41], v211, v211                       // 0000000189A4: D0480028 0003A7D3
	v_add3_u32 v18, v211, v21, 1                               // 0000000189AC: D1FF0012 02062BD3
	v_cndmask_b32_e64 v65, v18, v20, s[40:41]                  // 0000000189B4: D1000041 00A22912
	v_perm_b32 v209, v65, v64, s52                             // 0000000189BC: D1ED00D1 00D28141
	v_cmp_u_f32_e64 s[40:41], v212, v212                       // 0000000189C4: D0480028 0003A9D4
	v_add3_u32 v18, v212, v21, 1                               // 0000000189CC: D1FF0012 02062BD4
	v_cndmask_b32_e64 v64, v18, v20, s[40:41]                  // 0000000189D4: D1000040 00A22912
	v_cmp_u_f32_e64 s[40:41], v213, v213                       // 0000000189DC: D0480028 0003ABD5
	v_add3_u32 v18, v213, v21, 1                               // 0000000189E4: D1FF0012 02062BD5
	v_cndmask_b32_e64 v65, v18, v20, s[40:41]                  // 0000000189EC: D1000041 00A22912
	v_perm_b32 v210, v65, v64, s52                             // 0000000189F4: D1ED00D2 00D28141
	v_cmp_u_f32_e64 s[40:41], v214, v214                       // 0000000189FC: D0480028 0003ADD6
	v_add3_u32 v18, v214, v21, 1                               // 000000018A04: D1FF0012 02062BD6
	v_cndmask_b32_e64 v64, v18, v20, s[40:41]                  // 000000018A0C: D1000040 00A22912
	v_cmp_u_f32_e64 s[40:41], v215, v215                       // 000000018A14: D0480028 0003AFD7
	v_add3_u32 v18, v215, v21, 1                               // 000000018A1C: D1FF0012 02062BD7
	v_cndmask_b32_e64 v65, v18, v20, s[40:41]                  // 000000018A24: D1000041 00A22912
	v_perm_b32 v211, v65, v64, s52                             // 000000018A2C: D1ED00D3 00D28141
	s_nop 1                                                    // 000000018A34: BF800001
	v_lshrrev_b32_e32 v64, 4, v0                               // 000000018A38: 20800084
	v_mul_i32_i24_e32 v68, 34, v64                             // 000000018A3C: 0C8880A2
	v_and_b32_e32 v64, 15, v0                                  // 000000018A40: 2680008F
	v_mul_i32_i24_e32 v65, 2, v64                              // 000000018A44: 0C828082
	v_add_u32_e32 v68, v65, v68                                // 000000018A48: 68888941
	s_mul_i32 s60, s7, 0x88                                    // 000000018A4C: 923CFF07 00000088
	v_add_u32_e32 v68, s60, v68                                // 000000018A54: 6888883C
	v_lshlrev_b32_e32 v68, 2, v68                              // 000000018A58: 24888882
	ds_write_b64 v68, v[208:209] offset:41472                  // 000000018A5C: D89AA200 0000D044
	ds_write_b64 v68, v[210:211] offset:43648                  // 000000018A64: D89AAA80 0000D244
	v_lshrrev_b32_e32 v64, 1, v0                               // 000000018A6C: 20800081
	v_mul_i32_i24_e32 v68, 34, v64                             // 000000018A70: 0C8880A2
	v_and_b32_e32 v65, 1, v0                                   // 000000018A74: 26820081
	v_add_u32_e32 v68, v65, v68                                // 000000018A78: 68888941
	s_mul_i32 s60, s7, 2                                       // 000000018A7C: 923C8207
	v_add_u32_e32 v68, s60, v68                                // 000000018A80: 6888883C
	v_lshlrev_b32_e32 v68, 2, v68                              // 000000018A84: 24888882
	s_waitcnt lgkmcnt(0)                                       // 000000018A88: BF8CC07F
	s_barrier                                                  // 000000018A8C: BF8A0000
	ds_read_b32 v208, v68 offset:41472                         // 000000018A90: D86CA200 D0000044
	ds_read_b32 v209, v68 offset:41504                         // 000000018A98: D86CA220 D1000044
	ds_read_b32 v210, v68 offset:41536                         // 000000018AA0: D86CA240 D2000044
	ds_read_b32 v211, v68 offset:41568                         // 000000018AA8: D86CA260 D3000044
	s_mul_i32 s60, s7, 0x100                                   // 000000018AB0: 923CFF07 00000100
	v_lshlrev_b32_e32 v64, 2, v0                               // 000000018AB8: 24800082
	v_add_u32_e64 v64, v64, s60                                // 000000018ABC: D1340040 00007940
	s_waitcnt lgkmcnt(0)                                       // 000000018AC4: BF8CC07F
	buffer_store_dword v208, v64, s[8:11], 0 offen             // 000000018AC8: E0701000 8002D040
	buffer_store_dword v209, v64, s[8:11], 0 offen offset:1024 // 000000018AD0: E0701400 8002D140
	buffer_store_dword v210, v64, s[8:11], 0 offen offset:2048 // 000000018AD8: E0701800 8002D240
	buffer_store_dword v211, v64, s[8:11], 0 offen offset:3072 // 000000018AE0: E0701C00 8002D340
	s_add_u32 s8, s75, s8                                      // 000000018AE8: 8008084B
	s_addc_u32 s9, 0, s9                                       // 000000018AEC: 82090980
	v_mul_f32_e32 v216, v50, v216                              // 000000018AF0: 0BB1B132
	v_mul_f32_e32 v217, v50, v217                              // 000000018AF4: 0BB3B332
	v_mul_f32_e32 v218, v50, v218                              // 000000018AF8: 0BB5B532
	v_mul_f32_e32 v219, v50, v219                              // 000000018AFC: 0BB7B732
	v_mul_f32_e32 v220, v50, v220                              // 000000018B00: 0BB9B932
	v_mul_f32_e32 v221, v50, v221                              // 000000018B04: 0BBBBB32
	v_mul_f32_e32 v222, v50, v222                              // 000000018B08: 0BBDBD32
	v_mul_f32_e32 v223, v50, v223                              // 000000018B0C: 0BBFBF32
	v_mul_f32_e32 v184, v45, v184                              // 000000018B10: 0B71712D
	v_mul_f32_e32 v185, v45, v185                              // 000000018B14: 0B73732D
	v_mul_f32_e32 v186, v45, v186                              // 000000018B18: 0B75752D
	v_mul_f32_e32 v187, v45, v187                              // 000000018B1C: 0B77772D
	v_mul_f32_e32 v188, v45, v188                              // 000000018B20: 0B79792D
	v_mul_f32_e32 v189, v45, v189                              // 000000018B24: 0B7B7B2D
	v_mul_f32_e32 v190, v45, v190                              // 000000018B28: 0B7D7D2D
	v_mul_f32_e32 v191, v45, v191                              // 000000018B2C: 0B7F7F2D
	v_add_f32_e32 v216, v216, v184                             // 000000018B30: 03B171D8
	v_add_f32_e32 v217, v217, v185                             // 000000018B34: 03B373D9
	v_add_f32_e32 v218, v218, v186                             // 000000018B38: 03B575DA
	v_add_f32_e32 v219, v219, v187                             // 000000018B3C: 03B777DB
	v_add_f32_e32 v220, v220, v188                             // 000000018B40: 03B979DC
	v_add_f32_e32 v221, v221, v189                             // 000000018B44: 03BB7BDD
	v_add_f32_e32 v222, v222, v190                             // 000000018B48: 03BD7DDE
	v_add_f32_e32 v223, v223, v191                             // 000000018B4C: 03BF7FDF
	ds_write_b32 v8, v39 offset:16896                          // 000000018B50: D81A4200 00002708
	s_waitcnt lgkmcnt(0)                                       // 000000018B58: BF8CC07F
	s_barrier                                                  // 000000018B5C: BF8A0000
	ds_read_b32 v64, v7 offset:16896                           // 000000018B60: D86C4200 40000007
	ds_read_b32 v65, v7 offset:16960                           // 000000018B68: D86C4240 41000007
	ds_read_b32 v66, v7 offset:17024                           // 000000018B70: D86C4280 42000007
	ds_read_b32 v67, v7 offset:17088                           // 000000018B78: D86C42C0 43000007
	ds_read_b32 v68, v7 offset:17152                           // 000000018B80: D86C4300 44000007
	ds_read_b32 v69, v7 offset:17216                           // 000000018B88: D86C4340 45000007
	ds_read_b32 v70, v7 offset:17280                           // 000000018B90: D86C4380 46000007
	ds_read_b32 v71, v7 offset:17344                           // 000000018B98: D86C43C0 47000007
	ds_read_b32 v72, v7 offset:17408                           // 000000018BA0: D86C4400 48000007
	ds_read_b32 v73, v7 offset:17472                           // 000000018BA8: D86C4440 49000007
	ds_read_b32 v74, v7 offset:17536                           // 000000018BB0: D86C4480 4A000007
	ds_read_b32 v75, v7 offset:17600                           // 000000018BB8: D86C44C0 4B000007
	ds_read_b32 v76, v7 offset:17664                           // 000000018BC0: D86C4500 4C000007
	ds_read_b32 v77, v7 offset:17728                           // 000000018BC8: D86C4540 4D000007
	ds_read_b32 v78, v7 offset:17792                           // 000000018BD0: D86C4580 4E000007
	ds_read_b32 v79, v7 offset:17856                           // 000000018BD8: D86C45C0 4F000007
	s_waitcnt lgkmcnt(0)                                       // 000000018BE0: BF8CC07F
	v_mov_b32_e32 v39, 0                                       // 000000018BE4: 7E4E0280
	v_add_f32_e32 v39, v64, v39                                // 000000018BE8: 024E4F40
	v_add_f32_e32 v39, v65, v39                                // 000000018BEC: 024E4F41
	v_add_f32_e32 v39, v66, v39                                // 000000018BF0: 024E4F42
	v_add_f32_e32 v39, v67, v39                                // 000000018BF4: 024E4F43
	v_add_f32_e32 v39, v68, v39                                // 000000018BF8: 024E4F44
	v_add_f32_e32 v39, v69, v39                                // 000000018BFC: 024E4F45
	v_add_f32_e32 v39, v70, v39                                // 000000018C00: 024E4F46
	v_add_f32_e32 v39, v71, v39                                // 000000018C04: 024E4F47
	v_add_f32_e32 v39, v72, v39                                // 000000018C08: 024E4F48
	v_add_f32_e32 v39, v73, v39                                // 000000018C0C: 024E4F49
	v_add_f32_e32 v39, v74, v39                                // 000000018C10: 024E4F4A
	v_add_f32_e32 v39, v75, v39                                // 000000018C14: 024E4F4B
	v_add_f32_e32 v39, v76, v39                                // 000000018C18: 024E4F4C
	v_add_f32_e32 v39, v77, v39                                // 000000018C1C: 024E4F4D
	v_add_f32_e32 v39, v78, v39                                // 000000018C20: 024E4F4E
	v_add_f32_e32 v39, v79, v39                                // 000000018C24: 024E4F4F
	s_nop 1                                                    // 000000018C28: BF800001
	v_rcp_f32_e32 v39, v39                                     // 000000018C2C: 7E4E4527
	s_nop 1                                                    // 000000018C30: BF800001
	v_mul_f32_e32 v216, v39, v216                              // 000000018C34: 0BB1B127
	v_mul_f32_e32 v217, v39, v217                              // 000000018C38: 0BB3B327
	v_mul_f32_e32 v218, v39, v218                              // 000000018C3C: 0BB5B527
	v_mul_f32_e32 v219, v39, v219                              // 000000018C40: 0BB7B727
	v_mul_f32_e32 v220, v39, v220                              // 000000018C44: 0BB9B927
	v_mul_f32_e32 v221, v39, v221                              // 000000018C48: 0BBBBB27
	v_mul_f32_e32 v222, v39, v222                              // 000000018C4C: 0BBDBD27
	v_mul_f32_e32 v223, v39, v223                              // 000000018C50: 0BBFBF27
	v_mov_b32_e32 v19, 0xffff0000                              // 000000018C54: 7E2602FF FFFF0000
	v_mov_b32_e32 v20, 0x7fff0000                              // 000000018C5C: 7E2802FF 7FFF0000
	v_mov_b32_e32 v21, 0x7fff                                  // 000000018C64: 7E2A02FF 00007FFF
	v_cmp_u_f32_e64 s[40:41], v216, v216                       // 000000018C6C: D0480028 0003B1D8
	v_add3_u32 v18, v216, v21, 1                               // 000000018C74: D1FF0012 02062BD8
	v_cndmask_b32_e64 v64, v18, v20, s[40:41]                  // 000000018C7C: D1000040 00A22912
	v_cmp_u_f32_e64 s[40:41], v217, v217                       // 000000018C84: D0480028 0003B3D9
	v_add3_u32 v18, v217, v21, 1                               // 000000018C8C: D1FF0012 02062BD9
	v_cndmask_b32_e64 v65, v18, v20, s[40:41]                  // 000000018C94: D1000041 00A22912
	v_perm_b32 v216, v65, v64, s52                             // 000000018C9C: D1ED00D8 00D28141
	v_cmp_u_f32_e64 s[40:41], v218, v218                       // 000000018CA4: D0480028 0003B5DA
	v_add3_u32 v18, v218, v21, 1                               // 000000018CAC: D1FF0012 02062BDA
	v_cndmask_b32_e64 v64, v18, v20, s[40:41]                  // 000000018CB4: D1000040 00A22912
	v_cmp_u_f32_e64 s[40:41], v219, v219                       // 000000018CBC: D0480028 0003B7DB
	v_add3_u32 v18, v219, v21, 1                               // 000000018CC4: D1FF0012 02062BDB
	v_cndmask_b32_e64 v65, v18, v20, s[40:41]                  // 000000018CCC: D1000041 00A22912
	v_perm_b32 v217, v65, v64, s52                             // 000000018CD4: D1ED00D9 00D28141
	v_cmp_u_f32_e64 s[40:41], v220, v220                       // 000000018CDC: D0480028 0003B9DC
	v_add3_u32 v18, v220, v21, 1                               // 000000018CE4: D1FF0012 02062BDC
	v_cndmask_b32_e64 v64, v18, v20, s[40:41]                  // 000000018CEC: D1000040 00A22912
	v_cmp_u_f32_e64 s[40:41], v221, v221                       // 000000018CF4: D0480028 0003BBDD
	v_add3_u32 v18, v221, v21, 1                               // 000000018CFC: D1FF0012 02062BDD
	v_cndmask_b32_e64 v65, v18, v20, s[40:41]                  // 000000018D04: D1000041 00A22912
	v_perm_b32 v218, v65, v64, s52                             // 000000018D0C: D1ED00DA 00D28141
	v_cmp_u_f32_e64 s[40:41], v222, v222                       // 000000018D14: D0480028 0003BDDE
	v_add3_u32 v18, v222, v21, 1                               // 000000018D1C: D1FF0012 02062BDE
	v_cndmask_b32_e64 v64, v18, v20, s[40:41]                  // 000000018D24: D1000040 00A22912
	v_cmp_u_f32_e64 s[40:41], v223, v223                       // 000000018D2C: D0480028 0003BFDF
	v_add3_u32 v18, v223, v21, 1                               // 000000018D34: D1FF0012 02062BDF
	v_cndmask_b32_e64 v65, v18, v20, s[40:41]                  // 000000018D3C: D1000041 00A22912
	v_perm_b32 v219, v65, v64, s52                             // 000000018D44: D1ED00DB 00D28141
	s_nop 1                                                    // 000000018D4C: BF800001
	v_lshrrev_b32_e32 v64, 4, v0                               // 000000018D50: 20800084
	v_mul_i32_i24_e32 v68, 34, v64                             // 000000018D54: 0C8880A2
	v_and_b32_e32 v64, 15, v0                                  // 000000018D58: 2680008F
	v_mul_i32_i24_e32 v65, 2, v64                              // 000000018D5C: 0C828082
	v_add_u32_e32 v68, v65, v68                                // 000000018D60: 68888941
	s_mul_i32 s60, s7, 0x88                                    // 000000018D64: 923CFF07 00000088
	v_add_u32_e32 v68, s60, v68                                // 000000018D6C: 6888883C
	v_lshlrev_b32_e32 v68, 2, v68                              // 000000018D70: 24888882
	ds_write_b64 v68, v[216:217] offset:41472                  // 000000018D74: D89AA200 0000D844
	ds_write_b64 v68, v[218:219] offset:43648                  // 000000018D7C: D89AAA80 0000DA44
	v_lshrrev_b32_e32 v64, 1, v0                               // 000000018D84: 20800081
	v_mul_i32_i24_e32 v68, 34, v64                             // 000000018D88: 0C8880A2
	v_and_b32_e32 v65, 1, v0                                   // 000000018D8C: 26820081
	v_add_u32_e32 v68, v65, v68                                // 000000018D90: 68888941
	s_mul_i32 s60, s7, 2                                       // 000000018D94: 923C8207
	v_add_u32_e32 v68, s60, v68                                // 000000018D98: 6888883C
	v_lshlrev_b32_e32 v68, 2, v68                              // 000000018D9C: 24888882
	s_waitcnt lgkmcnt(0)                                       // 000000018DA0: BF8CC07F
	s_barrier                                                  // 000000018DA4: BF8A0000
	ds_read_b32 v216, v68 offset:41472                         // 000000018DA8: D86CA200 D8000044
	ds_read_b32 v217, v68 offset:41504                         // 000000018DB0: D86CA220 D9000044
	ds_read_b32 v218, v68 offset:41536                         // 000000018DB8: D86CA240 DA000044
	ds_read_b32 v219, v68 offset:41568                         // 000000018DC0: D86CA260 DB000044
	s_mul_i32 s60, s7, 0x100                                   // 000000018DC8: 923CFF07 00000100
	v_lshlrev_b32_e32 v64, 2, v0                               // 000000018DD0: 24800082
	v_add_u32_e64 v64, v64, s60                                // 000000018DD4: D1340040 00007940
	s_waitcnt lgkmcnt(0)                                       // 000000018DDC: BF8CC07F
	buffer_store_dword v216, v64, s[8:11], 0 offen             // 000000018DE0: E0701000 8002D840
	buffer_store_dword v217, v64, s[8:11], 0 offen offset:1024 // 000000018DE8: E0701400 8002D940
	buffer_store_dword v218, v64, s[8:11], 0 offen offset:2048 // 000000018DF0: E0701800 8002DA40
	buffer_store_dword v219, v64, s[8:11], 0 offen offset:3072 // 000000018DF8: E0701C00 8002DB40
	s_add_u32 s8, s75, s8                                      // 000000018E00: 8008084B
	s_addc_u32 s9, 0, s9                                       // 000000018E04: 82090980
	v_mul_f32_e32 v224, v51, v224                              // 000000018E08: 0BC1C133
	v_mul_f32_e32 v225, v51, v225                              // 000000018E0C: 0BC3C333
	v_mul_f32_e32 v226, v51, v226                              // 000000018E10: 0BC5C533
	v_mul_f32_e32 v227, v51, v227                              // 000000018E14: 0BC7C733
	v_mul_f32_e32 v228, v51, v228                              // 000000018E18: 0BC9C933
	v_mul_f32_e32 v229, v51, v229                              // 000000018E1C: 0BCBCB33
	v_mul_f32_e32 v230, v51, v230                              // 000000018E20: 0BCDCD33
	v_mul_f32_e32 v231, v51, v231                              // 000000018E24: 0BCFCF33
	v_mul_f32_e32 v192, v46, v192                              // 000000018E28: 0B81812E
	v_mul_f32_e32 v193, v46, v193                              // 000000018E2C: 0B83832E
	v_mul_f32_e32 v194, v46, v194                              // 000000018E30: 0B85852E
	v_mul_f32_e32 v195, v46, v195                              // 000000018E34: 0B87872E
	v_mul_f32_e32 v196, v46, v196                              // 000000018E38: 0B89892E
	v_mul_f32_e32 v197, v46, v197                              // 000000018E3C: 0B8B8B2E
	v_mul_f32_e32 v198, v46, v198                              // 000000018E40: 0B8D8D2E
	v_mul_f32_e32 v199, v46, v199                              // 000000018E44: 0B8F8F2E
	v_add_f32_e32 v224, v224, v192                             // 000000018E48: 03C181E0
	v_add_f32_e32 v225, v225, v193                             // 000000018E4C: 03C383E1
	v_add_f32_e32 v226, v226, v194                             // 000000018E50: 03C585E2
	v_add_f32_e32 v227, v227, v195                             // 000000018E54: 03C787E3
	v_add_f32_e32 v228, v228, v196                             // 000000018E58: 03C989E4
	v_add_f32_e32 v229, v229, v197                             // 000000018E5C: 03CB8BE5
	v_add_f32_e32 v230, v230, v198                             // 000000018E60: 03CD8DE6
	v_add_f32_e32 v231, v231, v199                             // 000000018E64: 03CF8FE7
	ds_write_b32 v8, v40 offset:16896                          // 000000018E68: D81A4200 00002808
	s_waitcnt lgkmcnt(0)                                       // 000000018E70: BF8CC07F
	s_barrier                                                  // 000000018E74: BF8A0000
	ds_read_b32 v64, v7 offset:16896                           // 000000018E78: D86C4200 40000007
	ds_read_b32 v65, v7 offset:16960                           // 000000018E80: D86C4240 41000007
	ds_read_b32 v66, v7 offset:17024                           // 000000018E88: D86C4280 42000007
	ds_read_b32 v67, v7 offset:17088                           // 000000018E90: D86C42C0 43000007
	ds_read_b32 v68, v7 offset:17152                           // 000000018E98: D86C4300 44000007
	ds_read_b32 v69, v7 offset:17216                           // 000000018EA0: D86C4340 45000007
	ds_read_b32 v70, v7 offset:17280                           // 000000018EA8: D86C4380 46000007
	ds_read_b32 v71, v7 offset:17344                           // 000000018EB0: D86C43C0 47000007
	ds_read_b32 v72, v7 offset:17408                           // 000000018EB8: D86C4400 48000007
	ds_read_b32 v73, v7 offset:17472                           // 000000018EC0: D86C4440 49000007
	ds_read_b32 v74, v7 offset:17536                           // 000000018EC8: D86C4480 4A000007
	ds_read_b32 v75, v7 offset:17600                           // 000000018ED0: D86C44C0 4B000007
	ds_read_b32 v76, v7 offset:17664                           // 000000018ED8: D86C4500 4C000007
	ds_read_b32 v77, v7 offset:17728                           // 000000018EE0: D86C4540 4D000007
	ds_read_b32 v78, v7 offset:17792                           // 000000018EE8: D86C4580 4E000007
	ds_read_b32 v79, v7 offset:17856                           // 000000018EF0: D86C45C0 4F000007
	s_waitcnt lgkmcnt(0)                                       // 000000018EF8: BF8CC07F
	v_mov_b32_e32 v40, 0                                       // 000000018EFC: 7E500280
	v_add_f32_e32 v40, v64, v40                                // 000000018F00: 02505140
	v_add_f32_e32 v40, v65, v40                                // 000000018F04: 02505141
	v_add_f32_e32 v40, v66, v40                                // 000000018F08: 02505142
	v_add_f32_e32 v40, v67, v40                                // 000000018F0C: 02505143
	v_add_f32_e32 v40, v68, v40                                // 000000018F10: 02505144
	v_add_f32_e32 v40, v69, v40                                // 000000018F14: 02505145
	v_add_f32_e32 v40, v70, v40                                // 000000018F18: 02505146
	v_add_f32_e32 v40, v71, v40                                // 000000018F1C: 02505147
	v_add_f32_e32 v40, v72, v40                                // 000000018F20: 02505148
	v_add_f32_e32 v40, v73, v40                                // 000000018F24: 02505149
	v_add_f32_e32 v40, v74, v40                                // 000000018F28: 0250514A
	v_add_f32_e32 v40, v75, v40                                // 000000018F2C: 0250514B
	v_add_f32_e32 v40, v76, v40                                // 000000018F30: 0250514C
	v_add_f32_e32 v40, v77, v40                                // 000000018F34: 0250514D
	v_add_f32_e32 v40, v78, v40                                // 000000018F38: 0250514E
	v_add_f32_e32 v40, v79, v40                                // 000000018F3C: 0250514F
	s_nop 1                                                    // 000000018F40: BF800001
	v_rcp_f32_e32 v40, v40                                     // 000000018F44: 7E504528
	s_nop 1                                                    // 000000018F48: BF800001
	v_mul_f32_e32 v224, v40, v224                              // 000000018F4C: 0BC1C128
	v_mul_f32_e32 v225, v40, v225                              // 000000018F50: 0BC3C328
	v_mul_f32_e32 v226, v40, v226                              // 000000018F54: 0BC5C528
	v_mul_f32_e32 v227, v40, v227                              // 000000018F58: 0BC7C728
	v_mul_f32_e32 v228, v40, v228                              // 000000018F5C: 0BC9C928
	v_mul_f32_e32 v229, v40, v229                              // 000000018F60: 0BCBCB28
	v_mul_f32_e32 v230, v40, v230                              // 000000018F64: 0BCDCD28
	v_mul_f32_e32 v231, v40, v231                              // 000000018F68: 0BCFCF28
	v_mov_b32_e32 v19, 0xffff0000                              // 000000018F6C: 7E2602FF FFFF0000
	v_mov_b32_e32 v20, 0x7fff0000                              // 000000018F74: 7E2802FF 7FFF0000
	v_mov_b32_e32 v21, 0x7fff                                  // 000000018F7C: 7E2A02FF 00007FFF
	v_cmp_u_f32_e64 s[40:41], v224, v224                       // 000000018F84: D0480028 0003C1E0
	v_add3_u32 v18, v224, v21, 1                               // 000000018F8C: D1FF0012 02062BE0
	v_cndmask_b32_e64 v64, v18, v20, s[40:41]                  // 000000018F94: D1000040 00A22912
	v_cmp_u_f32_e64 s[40:41], v225, v225                       // 000000018F9C: D0480028 0003C3E1
	v_add3_u32 v18, v225, v21, 1                               // 000000018FA4: D1FF0012 02062BE1
	v_cndmask_b32_e64 v65, v18, v20, s[40:41]                  // 000000018FAC: D1000041 00A22912
	v_perm_b32 v224, v65, v64, s52                             // 000000018FB4: D1ED00E0 00D28141
	v_cmp_u_f32_e64 s[40:41], v226, v226                       // 000000018FBC: D0480028 0003C5E2
	v_add3_u32 v18, v226, v21, 1                               // 000000018FC4: D1FF0012 02062BE2
	v_cndmask_b32_e64 v64, v18, v20, s[40:41]                  // 000000018FCC: D1000040 00A22912
	v_cmp_u_f32_e64 s[40:41], v227, v227                       // 000000018FD4: D0480028 0003C7E3
	v_add3_u32 v18, v227, v21, 1                               // 000000018FDC: D1FF0012 02062BE3
	v_cndmask_b32_e64 v65, v18, v20, s[40:41]                  // 000000018FE4: D1000041 00A22912
	v_perm_b32 v225, v65, v64, s52                             // 000000018FEC: D1ED00E1 00D28141
	v_cmp_u_f32_e64 s[40:41], v228, v228                       // 000000018FF4: D0480028 0003C9E4
	v_add3_u32 v18, v228, v21, 1                               // 000000018FFC: D1FF0012 02062BE4
	v_cndmask_b32_e64 v64, v18, v20, s[40:41]                  // 000000019004: D1000040 00A22912
	v_cmp_u_f32_e64 s[40:41], v229, v229                       // 00000001900C: D0480028 0003CBE5
	v_add3_u32 v18, v229, v21, 1                               // 000000019014: D1FF0012 02062BE5
	v_cndmask_b32_e64 v65, v18, v20, s[40:41]                  // 00000001901C: D1000041 00A22912
	v_perm_b32 v226, v65, v64, s52                             // 000000019024: D1ED00E2 00D28141
	v_cmp_u_f32_e64 s[40:41], v230, v230                       // 00000001902C: D0480028 0003CDE6
	v_add3_u32 v18, v230, v21, 1                               // 000000019034: D1FF0012 02062BE6
	v_cndmask_b32_e64 v64, v18, v20, s[40:41]                  // 00000001903C: D1000040 00A22912
	v_cmp_u_f32_e64 s[40:41], v231, v231                       // 000000019044: D0480028 0003CFE7
	v_add3_u32 v18, v231, v21, 1                               // 00000001904C: D1FF0012 02062BE7
	v_cndmask_b32_e64 v65, v18, v20, s[40:41]                  // 000000019054: D1000041 00A22912
	v_perm_b32 v227, v65, v64, s52                             // 00000001905C: D1ED00E3 00D28141
	s_nop 1                                                    // 000000019064: BF800001
	v_lshrrev_b32_e32 v64, 4, v0                               // 000000019068: 20800084
	v_mul_i32_i24_e32 v68, 34, v64                             // 00000001906C: 0C8880A2
	v_and_b32_e32 v64, 15, v0                                  // 000000019070: 2680008F
	v_mul_i32_i24_e32 v65, 2, v64                              // 000000019074: 0C828082
	v_add_u32_e32 v68, v65, v68                                // 000000019078: 68888941
	s_mul_i32 s60, s7, 0x88                                    // 00000001907C: 923CFF07 00000088
	v_add_u32_e32 v68, s60, v68                                // 000000019084: 6888883C
	v_lshlrev_b32_e32 v68, 2, v68                              // 000000019088: 24888882
	ds_write_b64 v68, v[224:225] offset:41472                  // 00000001908C: D89AA200 0000E044
	ds_write_b64 v68, v[226:227] offset:43648                  // 000000019094: D89AAA80 0000E244
	v_lshrrev_b32_e32 v64, 1, v0                               // 00000001909C: 20800081
	v_mul_i32_i24_e32 v68, 34, v64                             // 0000000190A0: 0C8880A2
	v_and_b32_e32 v65, 1, v0                                   // 0000000190A4: 26820081
	v_add_u32_e32 v68, v65, v68                                // 0000000190A8: 68888941
	s_mul_i32 s60, s7, 2                                       // 0000000190AC: 923C8207
	v_add_u32_e32 v68, s60, v68                                // 0000000190B0: 6888883C
	v_lshlrev_b32_e32 v68, 2, v68                              // 0000000190B4: 24888882
	s_waitcnt lgkmcnt(0)                                       // 0000000190B8: BF8CC07F
	s_barrier                                                  // 0000000190BC: BF8A0000
	ds_read_b32 v224, v68 offset:41472                         // 0000000190C0: D86CA200 E0000044
	ds_read_b32 v225, v68 offset:41504                         // 0000000190C8: D86CA220 E1000044
	ds_read_b32 v226, v68 offset:41536                         // 0000000190D0: D86CA240 E2000044
	ds_read_b32 v227, v68 offset:41568                         // 0000000190D8: D86CA260 E3000044
	s_mul_i32 s60, s7, 0x100                                   // 0000000190E0: 923CFF07 00000100
	v_lshlrev_b32_e32 v64, 2, v0                               // 0000000190E8: 24800082
	v_add_u32_e64 v64, v64, s60                                // 0000000190EC: D1340040 00007940
	s_waitcnt lgkmcnt(0)                                       // 0000000190F4: BF8CC07F
	buffer_store_dword v224, v64, s[8:11], 0 offen             // 0000000190F8: E0701000 8002E040
	buffer_store_dword v225, v64, s[8:11], 0 offen offset:1024 // 000000019100: E0701400 8002E140
	buffer_store_dword v226, v64, s[8:11], 0 offen offset:2048 // 000000019108: E0701800 8002E240
	buffer_store_dword v227, v64, s[8:11], 0 offen offset:3072 // 000000019110: E0701C00 8002E340
	s_add_u32 s8, s75, s8                                      // 000000019118: 8008084B
	s_addc_u32 s9, 0, s9                                       // 00000001911C: 82090980

0000000000019120 <label_5BC8>:
	s_branch label_9638                                        // 000000019120: BF823A6F

0000000000019124 <label_5BC9>:
	s_mul_i32 s60, s3, s65                                     // 000000019124: 923C4103
	s_mul_i32 s60, s60, 4                                      // 000000019128: 923C843C
	s_add_u32 s24, s60, s24                                    // 00000001912C: 8018183C
	s_addc_u32 s25, 0, s25                                     // 000000019130: 82191980
	s_mov_b32 s56, 64                                          // 000000019134: BEB800C0
	s_add_u32 s73, s72, 15                                     // 000000019138: 80498F48
	s_lshr_b32 s73, s73, 4                                     // 00000001913C: 8F498449
	s_mul_i32 s60, s73, 4                                      // 000000019140: 923C8449
	s_mov_b32 s26, s60                                         // 000000019144: BE9A003C
	v_and_b32_e32 v65, 3, v0                                   // 000000019148: 26820083
	v_cmp_eq_u32_e64 s[60:61], 0, v65                          // 00000001914C: D0CA003C 00028280
	v_and_b32_e32 v64, 12, v0                                  // 000000019154: 2680008C
	v_add_u32_e32 v1, s7, v64                                  // 000000019158: 68028007
	v_cndmask_b32_e64 v1, 0, v1, s[60:61]                      // 00000001915C: D1000001 00F20280
	v_and_b32_e32 v65, 3, v0                                   // 000000019164: 26820083
	v_cmp_eq_u32_e64 s[60:61], 1, v65                          // 000000019168: D0CA003C 00028281
	v_lshrrev_b32_e32 v64, 4, v0                               // 000000019170: 20800084
	v_and_b32_e32 v65, 12, v0                                  // 000000019174: 2682008C
	v_add_u32_e32 v64, v65, v64                                // 000000019178: 68808141
	v_cndmask_b32_e64 v64, 0, v64, s[60:61]                    // 00000001917C: D1000040 00F28080
	v_add_u32_e32 v1, v1, v64                                  // 000000019184: 68028101
	v_lshlrev_b32_e32 v1, 2, v1                                // 000000019188: 24020282
	buffer_load_dword v16, v1, s[24:27], 0 offen               // 00000001918C: E0501000 80061001
	v_add_u32_e32 v1, s56, v1                                  // 000000019194: 68020238
	buffer_load_dword v17, v1, s[24:27], 0 offen               // 000000019198: E0501000 80061101
	s_cmp_le_u32 s73, 32                                       // 0000000191A0: BF0BA049
	s_cselect_b32 s56, 0, s56                                  // 0000000191A4: 85383880
	s_mul_i32 s60, s2, s67                                     // 0000000191A8: 923C4302
	s_mul_i32 s61, s84, s74                                    // 0000000191AC: 923D4A54
	s_add_u32 s60, s60, s61                                    // 0000000191B0: 803C3D3C
	s_add_u32 s12, s60, s12                                    // 0000000191B4: 800C0C3C
	s_addc_u32 s13, 0, s13                                     // 0000000191B8: 820D0D80
	s_mul_i32 s60, s7, 0x108                                   // 0000000191BC: 923CFF07 00000108
	s_add_u32 m0, 0, s60                                       // 0000000191C4: 807C3C80
	s_mul_i32 s60, s7, 0x100                                   // 0000000191C8: 923CFF07 00000100
	v_lshlrev_b32_e32 v64, 2, v0                               // 0000000191D0: 24800082
	v_add_u32_e64 v64, v64, s60                                // 0000000191D4: D1340040 00007940
	v_add_u32_e32 v65, 0x400, v64                              // 0000000191DC: 688280FF 00000400
	v_add_u32_e32 v66, 0x800, v64                              // 0000000191E4: 688480FF 00000800
	v_add_u32_e32 v67, 0xc00, v64                              // 0000000191EC: 688680FF 00000C00
	buffer_load_dword v64, s[12:15], 0 offen lds               // 0000000191F4: E0511000 80030040
	s_mul_i32 s60, 4, 0x108                                    // 0000000191FC: 923CFF84 00000108
	s_add_u32 m0, m0, s60                                      // 000000019204: 807C3C7C
	buffer_load_dword v65, s[12:15], 0 offen lds               // 000000019208: E0511000 80030041
	s_mul_i32 s60, 4, 0x108                                    // 000000019210: 923CFF84 00000108
	s_add_u32 m0, m0, s60                                      // 000000019218: 807C3C7C
	buffer_load_dword v66, s[12:15], 0 offen lds               // 00000001921C: E0511000 80030042
	s_mul_i32 s60, 4, 0x108                                    // 000000019224: 923CFF84 00000108
	s_add_u32 m0, m0, s60                                      // 00000001922C: 807C3C7C
	buffer_load_dword v67, s[12:15], 0 offen lds               // 000000019230: E0511000 80030043
	s_mul_i32 s60, 4, 0x108                                    // 000000019238: 923CFF84 00000108
	s_add_u32 m0, m0, s60                                      // 000000019240: 807C3C7C
	s_add_u32 s12, s74, s12                                    // 000000019244: 800C0C4A
	s_addc_u32 s13, 0, s13                                     // 000000019248: 820D0D80
	buffer_load_dword v64, s[12:15], 0 offen lds               // 00000001924C: E0511000 80030040
	s_mul_i32 s60, 4, 0x108                                    // 000000019254: 923CFF84 00000108
	s_add_u32 m0, m0, s60                                      // 00000001925C: 807C3C7C
	buffer_load_dword v65, s[12:15], 0 offen lds               // 000000019260: E0511000 80030041
	s_mul_i32 s60, 4, 0x108                                    // 000000019268: 923CFF84 00000108
	s_add_u32 m0, m0, s60                                      // 000000019270: 807C3C7C
	buffer_load_dword v66, s[12:15], 0 offen lds               // 000000019274: E0511000 80030042
	s_mul_i32 s60, 4, 0x108                                    // 00000001927C: 923CFF84 00000108
	s_add_u32 m0, m0, s60                                      // 000000019284: 807C3C7C
	buffer_load_dword v67, s[12:15], 0 offen lds               // 000000019288: E0511000 80030043
	s_mul_i32 s60, 4, 0x108                                    // 000000019290: 923CFF84 00000108
	s_add_u32 m0, m0, s60                                      // 000000019298: 807C3C7C
	s_add_u32 s12, s74, s12                                    // 00000001929C: 800C0C4A
	s_addc_u32 s13, 0, s13                                     // 0000000192A0: 820D0D80
	buffer_load_dword v64, s[12:15], 0 offen lds               // 0000000192A4: E0511000 80030040
	s_mul_i32 s60, 4, 0x108                                    // 0000000192AC: 923CFF84 00000108
	s_add_u32 m0, m0, s60                                      // 0000000192B4: 807C3C7C
	buffer_load_dword v65, s[12:15], 0 offen lds               // 0000000192B8: E0511000 80030041
	s_mul_i32 s60, 4, 0x108                                    // 0000000192C0: 923CFF84 00000108
	s_add_u32 m0, m0, s60                                      // 0000000192C8: 807C3C7C
	buffer_load_dword v66, s[12:15], 0 offen lds               // 0000000192CC: E0511000 80030042
	s_mul_i32 s60, 4, 0x108                                    // 0000000192D4: 923CFF84 00000108
	s_add_u32 m0, m0, s60                                      // 0000000192DC: 807C3C7C
	buffer_load_dword v67, s[12:15], 0 offen lds               // 0000000192E0: E0511000 80030043
	s_mul_i32 s60, 4, 0x108                                    // 0000000192E8: 923CFF84 00000108
	s_add_u32 m0, m0, s60                                      // 0000000192F0: 807C3C7C
	s_add_u32 s12, s74, s12                                    // 0000000192F4: 800C0C4A
	s_addc_u32 s13, 0, s13                                     // 0000000192F8: 820D0D80
	buffer_load_dword v64, s[12:15], 0 offen lds               // 0000000192FC: E0511000 80030040
	s_mul_i32 s60, 4, 0x108                                    // 000000019304: 923CFF84 00000108
	s_add_u32 m0, m0, s60                                      // 00000001930C: 807C3C7C
	buffer_load_dword v65, s[12:15], 0 offen lds               // 000000019310: E0511000 80030041
	s_mul_i32 s60, 4, 0x108                                    // 000000019318: 923CFF84 00000108
	s_add_u32 m0, m0, s60                                      // 000000019320: 807C3C7C
	buffer_load_dword v66, s[12:15], 0 offen lds               // 000000019324: E0511000 80030042
	s_mul_i32 s60, 4, 0x108                                    // 00000001932C: 923CFF84 00000108
	s_add_u32 m0, m0, s60                                      // 000000019334: 807C3C7C
	buffer_load_dword v67, s[12:15], 0 offen lds               // 000000019338: E0511000 80030043
	s_mul_i32 s60, 4, 0x108                                    // 000000019340: 923CFF84 00000108
	s_add_u32 m0, m0, s60                                      // 000000019348: 807C3C7C
	s_add_u32 s12, s74, s12                                    // 00000001934C: 800C0C4A
	s_addc_u32 s13, 0, s13                                     // 000000019350: 820D0D80
	v_lshrrev_b32_e32 v64, 4, v0                               // 000000019354: 20800084
	v_lshlrev_b32_e32 v64, 2, v64                              // 000000019358: 24808082
	v_and_b32_e32 v65, 3, v0                                   // 00000001935C: 26820083
	v_add_u32_e32 v64, v65, v64                                // 000000019360: 68808141
	v_lshlrev_b32_e32 v59, 2, v64                              // 000000019364: 24768082
	v_mov_b32_e32 v60, v59                                     // 000000019368: 7E78033B
	s_mul_i32 s60, s2, 64                                      // 00000001936C: 923CC002
	s_add_u32 s32, s60, s32                                    // 000000019370: 8020203C
	s_addc_u32 s33, 0, s33                                     // 000000019374: 82212180
	s_add_u32 s36, s60, s36                                    // 000000019378: 8024243C
	s_addc_u32 s37, 0, s37                                     // 00000001937C: 82252580
	s_mul_i32 s60, s2, s76                                     // 000000019380: 923C4C02
	s_mul_i32 s61, s84, s75                                    // 000000019384: 923D4B54
	s_add_u32 s60, s60, s61                                    // 000000019388: 803C3D3C
	s_add_u32 s8, s60, s8                                      // 00000001938C: 8008083C
	s_addc_u32 s9, 0, s9                                       // 000000019390: 82090980
	s_mov_b32 s70, 0                                           // 000000019394: BEC60080
	s_and_b32 s71, s72, 0xffffff00                             // 000000019398: 8647FF48 FFFFFF00
	s_mov_b32 s42, 0xff00ff00                                  // 0000000193A0: BEAA00FF FF00FF00
	s_mov_b32 s43, 0xff00ff00                                  // 0000000193A8: BEAB00FF FF00FF00
	s_mov_b32 s44, 0xf0f0f0f0                                  // 0000000193B0: BEAC00FF F0F0F0F0
	s_mov_b32 s45, 0xf0f0f0f0                                  // 0000000193B8: BEAD00FF F0F0F0F0
	s_mov_b32 s78, 0xff00ff                                    // 0000000193C0: BECE00FF 00FF00FF
	s_mov_b32 s79, 0xff00ff                                    // 0000000193C8: BECF00FF 00FF00FF
	v_mul_i32_i24_e64 v63, 64, s66                             // 0000000193D0: D106003F 000084C0
	v_mov_b32_e32 v54, s68                                     // 0000000193D8: 7E6C0244
	s_mov_b32 s52, 0x7060302                                   // 0000000193DC: BEB400FF 07060302
	s_mov_b32 s53, 0x400                                       // 0000000193E4: BEB500FF 00000400
	s_mov_b32 s54, 0x40100                                     // 0000000193EC: BEB600FF 00040100
	s_mov_b32 s55, 0x4020100                                   // 0000000193F4: BEB700FF 04020100
	s_mov_b32 s6, 0x3fb8aa3b                                   // 0000000193FC: BE8600FF 3FB8AA3B
	v_mov_b32_e32 v11, 0xff800000                              // 000000019404: 7E1602FF FF800000
	v_mov_b32_e32 v12, 0xff800000                              // 00000001940C: 7E1802FF FF800000
	v_mov_b32_e32 v49, 0                                       // 000000019414: 7E620280
	v_mov_b32_e32 v50, 0                                       // 000000019418: 7E640280
	v_mov_b32_e32 v51, 0                                       // 00000001941C: 7E660280
	v_mov_b32_e32 v52, 0                                       // 000000019420: 7E680280
	v_mov_b32_e32 v38, 0                                       // 000000019424: 7E4C0280
	v_mov_b32_e32 v39, 0                                       // 000000019428: 7E4E0280
	v_mov_b32_e32 v40, 0                                       // 00000001942C: 7E500280
	v_mov_b32_e32 v41, 0                                       // 000000019430: 7E520280
	v_mov_b32_e32 v44, 0                                       // 000000019434: 7E580280
	v_mov_b32_e32 v45, 0                                       // 000000019438: 7E5A0280
	v_mov_b32_e32 v46, 0                                       // 00000001943C: 7E5C0280
	v_mov_b32_e32 v47, 0                                       // 000000019440: 7E5E0280
	v_add_u32_e32 v1, s56, v1                                  // 000000019444: 68020238
	v_and_b32_e32 v7, 15, v0                                   // 000000019448: 260E008F
	v_lshlrev_b32_e32 v7, 2, v7                                // 00000001944C: 240E0E82
	v_lshlrev_b32_e32 v8, 2, v0                                // 000000019450: 24100082
	s_mul_i32 s60, 0x100, s7                                   // 000000019454: 923C07FF 00000100
	v_add_u32_e32 v8, s60, v8                                  // 00000001945C: 6810103C
	v_lshrrev_b32_e32 v64, 4, v0                               // 000000019460: 20800084
	v_lshlrev_b32_e32 v65, 6, v64                              // 000000019464: 24828086
	v_and_b32_e32 v64, 15, v0                                  // 000000019468: 2680008F
	v_lshlrev_b32_e32 v64, 1, v64                              // 00000001946C: 24808081
	v_add_u32_e32 v65, v64, v65                                // 000000019470: 68828340
	v_lshlrev_b32_e32 v9, 2, v65                               // 000000019474: 24128282
	v_lshrrev_b32_e32 v64, 5, v0                               // 000000019478: 20800085
	v_lshlrev_b32_e32 v65, 5, v64                              // 00000001947C: 24828085
	v_and_b32_e32 v64, 31, v0                                  // 000000019480: 2680009F
	v_lshrrev_b32_e32 v66, 4, v64                              // 000000019484: 20848084
	v_add_u32_e32 v65, v66, v65                                // 000000019488: 68828342
	v_and_b32_e32 v64, 15, v0                                  // 00000001948C: 2680008F
	v_lshlrev_b32_e32 v64, 1, v64                              // 000000019490: 24808081
	v_add_u32_e32 v65, v64, v65                                // 000000019494: 68828340
	v_lshlrev_b32_e32 v64, 2, v65                              // 000000019498: 24808282
	s_mul_i32 s60, 0x100, s7                                   // 00000001949C: 923C07FF 00000100
	v_add_u32_e64 v10, v64, s60                                // 0000000194A4: D134000A 00007940
	v_lshlrev_b32_e32 v5, 4, v0                                // 0000000194AC: 240A0084
	s_mul_i32 s60, s2, s69                                     // 0000000194B0: 923C4502
	s_add_u32 s16, s60, s16                                    // 0000000194B4: 8010103C
	s_addc_u32 s17, 0, s17                                     // 0000000194B8: 82111180
	v_and_b32_e32 v64, 15, v0                                  // 0000000194BC: 2680008F
	v_lshlrev_b32_e32 v6, 4, v64                               // 0000000194C0: 240C8084
	s_mul_i32 s61, s2, s69                                     // 0000000194C4: 923D4502
	s_mul_i32 s60, s7, 0x100                                   // 0000000194C8: 923CFF07 00000100
	s_add_u32 s60, s60, s61                                    // 0000000194D0: 803C3D3C
	s_add_u32 s20, s60, s20                                    // 0000000194D4: 8014143C
	s_addc_u32 s21, 0, s21                                     // 0000000194D8: 82151580
	s_waitcnt vmcnt(4)                                         // 0000000194DC: BF8C0F74
	v_mul_u32_u24_dpp v64, v16, v54 row_newbcast:0 row_mask:0xf bank_mask:0xf// 0000000194E0: 10806CFA FF015010
	v_mul_u32_u24_dpp v65, v16, v54 row_newbcast:4 row_mask:0xf bank_mask:0xf// 0000000194E8: 10826CFA FF015410
	v_mul_u32_u24_dpp v66, v16, v54 row_newbcast:8 row_mask:0xf bank_mask:0xf// 0000000194F0: 10846CFA FF015810
	v_mul_u32_u24_dpp v67, v16, v54 row_newbcast:12 row_mask:0xf bank_mask:0xf// 0000000194F8: 10866CFA FF015C10
	v_add_u32_e32 v22, v64, v5                                 // 000000019500: 682C0B40
	v_add_u32_e32 v23, v65, v5                                 // 000000019504: 682E0B41
	v_add_u32_e32 v24, v66, v5                                 // 000000019508: 68300B42
	v_add_u32_e32 v25, v67, v5                                 // 00000001950C: 68320B43
	v_mul_u32_u24_dpp v64, v16, v54 row_newbcast:1 row_mask:0xf bank_mask:0xf// 000000019510: 10806CFA FF015110
	v_mul_u32_u24_dpp v65, v16, v54 row_newbcast:5 row_mask:0xf bank_mask:0xf// 000000019518: 10826CFA FF015510
	v_mul_u32_u24_dpp v66, v16, v54 row_newbcast:9 row_mask:0xf bank_mask:0xf// 000000019520: 10846CFA FF015910
	v_mul_u32_u24_dpp v67, v16, v54 row_newbcast:13 row_mask:0xf bank_mask:0xf// 000000019528: 10866CFA FF015D10
	v_add_u32_e32 v30, v64, v6                                 // 000000019530: 683C0D40
	v_add_u32_e32 v31, v65, v6                                 // 000000019534: 683E0D41
	v_add_u32_e32 v32, v66, v6                                 // 000000019538: 68400D42
	v_add_u32_e32 v33, v67, v6                                 // 00000001953C: 68420D43
	v_mul_u32_u24_dpp v64, v16, v63 quad_perm:[0,0,0,0] row_mask:0xf bank_mask:0xf// 000000019540: 10807EFA FF000010
	v_add_u32_e32 v2, v64, v59                                 // 000000019548: 68047740
	v_mul_u32_u24_dpp v64, v16, v63 quad_perm:[0,0,0,0] row_mask:0xf bank_mask:0xf// 00000001954C: 10807EFA FF000010
	v_add_u32_e32 v55, v64, v60                                // 000000019554: 686E7940
	buffer_load_dword v42, v2, s[32:35], 0 offen               // 000000019558: E0501000 80082A02
	buffer_load_dwordx4 a[0:3], v22, s[16:19], 0 offen         // 000000019560: E05C1000 80840016
	buffer_load_dwordx4 a[4:7], v22, s[16:19], 0 offen offset:1024// 000000019568: E05C1400 80840416
	buffer_load_dwordx4 a[8:11], v23, s[16:19], 0 offen        // 000000019570: E05C1000 80840817
	buffer_load_dwordx4 a[12:15], v23, s[16:19], 0 offen offset:1024// 000000019578: E05C1400 80840C17
	buffer_load_dwordx4 a[16:19], v24, s[16:19], 0 offen       // 000000019580: E05C1000 80841018
	buffer_load_dwordx4 a[20:23], v24, s[16:19], 0 offen offset:1024// 000000019588: E05C1400 80841418
	buffer_load_dwordx4 a[24:27], v25, s[16:19], 0 offen       // 000000019590: E05C1000 80841819
	buffer_load_dwordx4 a[28:31], v25, s[16:19], 0 offen offset:1024// 000000019598: E05C1400 80841C19
	buffer_load_dword v57, v55, s[36:39], 0 offen              // 0000000195A0: E0501000 80093937
	buffer_load_dwordx4 a[64:67], v30, s[20:23], 0 offen       // 0000000195A8: E05C1000 8085401E
	buffer_load_dwordx4 a[68:71], v31, s[20:23], 0 offen       // 0000000195B0: E05C1000 8085441F
	buffer_load_dwordx4 a[72:75], v32, s[20:23], 0 offen       // 0000000195B8: E05C1000 80854820
	buffer_load_dwordx4 a[76:79], v33, s[20:23], 0 offen       // 0000000195C0: E05C1000 80854C21
	buffer_load_dwordx4 a[80:83], v30, s[20:23], 0 offen offset:1024// 0000000195C8: E05C1400 8085501E
	buffer_load_dwordx4 a[84:87], v31, s[20:23], 0 offen offset:1024// 0000000195D0: E05C1400 8085541F
	buffer_load_dwordx4 a[88:91], v32, s[20:23], 0 offen offset:1024// 0000000195D8: E05C1400 80855820
	buffer_load_dwordx4 a[92:95], v33, s[20:23], 0 offen offset:1024// 0000000195E0: E05C1400 80855C21
	v_lshrrev_b32_e32 v64, 4, v0                               // 0000000195E8: 20800084
	v_lshlrev_b32_e32 v65, 1, v64                              // 0000000195EC: 24828081
	v_and_b32_e32 v64, 15, v0                                  // 0000000195F0: 2680008F
	v_mul_i32_i24_e32 v64, 0x42, v64                           // 0000000195F4: 0C8080FF 00000042
	v_add_u32_e32 v65, v64, v65                                // 0000000195FC: 68828340
	v_lshlrev_b32_e32 v4, 2, v65                               // 000000019600: 24088282
	s_mul_i32 s60, s7, 32                                      // 000000019604: 923CA007
	v_add_u32_e32 v4, s60, v4                                  // 000000019608: 6808083C
	s_waitcnt vmcnt(16) lgkmcnt(0)                             // 00000001960C: BF8C4070
	s_barrier                                                  // 000000019610: BF8A0000
	ds_read_b64 v[80:81], v4                                   // 000000019614: D8EC0000 50000004
	ds_read_b64 v[84:85], v4 offset:128                        // 00000001961C: D8EC0080 54000004
	s_waitcnt lgkmcnt(0)                                       // 000000019624: BF8CC07F
	v_and_b32_e32 v83, 0xffff0000, v81                         // 000000019628: 26A6A2FF FFFF0000
	v_lshlrev_b32_e32 v82, 16, v81                             // 000000019630: 24A4A290
	v_and_b32_e32 v81, 0xffff0000, v80                         // 000000019634: 26A2A0FF FFFF0000
	v_lshlrev_b32_e32 v80, 16, v80                             // 00000001963C: 24A0A090
	v_and_b32_e32 v87, 0xffff0000, v85                         // 000000019640: 26AEAAFF FFFF0000
	v_lshlrev_b32_e32 v86, 16, v85                             // 000000019648: 24ACAA90
	v_and_b32_e32 v85, 0xffff0000, v84                         // 00000001964C: 26AAA8FF FFFF0000
	v_lshlrev_b32_e32 v84, 16, v84                             // 000000019654: 24A8A890
	v_mov_b32_e32 v48, 0x358637bd                              // 000000019658: 7E6002FF 358637BD
	v_max3_f32 v48, |v80|, |v81|, v48                          // 000000019660: D1D30330 04C2A350
	v_max3_f32 v48, |v82|, |v83|, v48                          // 000000019668: D1D30330 04C2A752
	v_max3_f32 v48, |v84|, |v85|, v48                          // 000000019670: D1D30330 04C2AB54
	v_max3_f32 v48, |v86|, |v87|, v48                          // 000000019678: D1D30330 04C2AF56
	ds_write_b32 v8, v48 offset:16896                          // 000000019680: D81A4200 00003008
	s_waitcnt lgkmcnt(0)                                       // 000000019688: BF8CC07F
	s_barrier                                                  // 00000001968C: BF8A0000
	ds_read_b32 v64, v7 offset:16896                           // 000000019690: D86C4200 40000007
	ds_read_b32 v65, v7 offset:16960                           // 000000019698: D86C4240 41000007
	ds_read_b32 v66, v7 offset:17024                           // 0000000196A0: D86C4280 42000007
	ds_read_b32 v67, v7 offset:17088                           // 0000000196A8: D86C42C0 43000007
	ds_read_b32 v68, v7 offset:17152                           // 0000000196B0: D86C4300 44000007
	ds_read_b32 v69, v7 offset:17216                           // 0000000196B8: D86C4340 45000007
	ds_read_b32 v70, v7 offset:17280                           // 0000000196C0: D86C4380 46000007
	ds_read_b32 v71, v7 offset:17344                           // 0000000196C8: D86C43C0 47000007
	ds_read_b32 v72, v7 offset:17408                           // 0000000196D0: D86C4400 48000007
	ds_read_b32 v73, v7 offset:17472                           // 0000000196D8: D86C4440 49000007
	ds_read_b32 v74, v7 offset:17536                           // 0000000196E0: D86C4480 4A000007
	ds_read_b32 v75, v7 offset:17600                           // 0000000196E8: D86C44C0 4B000007
	ds_read_b32 v76, v7 offset:17664                           // 0000000196F0: D86C4500 4C000007
	ds_read_b32 v77, v7 offset:17728                           // 0000000196F8: D86C4540 4D000007
	ds_read_b32 v78, v7 offset:17792                           // 000000019700: D86C4580 4E000007
	ds_read_b32 v79, v7 offset:17856                           // 000000019708: D86C45C0 4F000007
	s_waitcnt lgkmcnt(0)                                       // 000000019710: BF8CC07F
	v_max3_f32 v48, |v64|, |v65|, v48                          // 000000019714: D1D30330 04C28340
	v_max3_f32 v48, |v66|, |v67|, v48                          // 00000001971C: D1D30330 04C28742
	v_max3_f32 v48, |v68|, |v69|, v48                          // 000000019724: D1D30330 04C28B44
	v_max3_f32 v48, |v70|, |v71|, v48                          // 00000001972C: D1D30330 04C28F46
	v_max3_f32 v48, |v72|, |v73|, v48                          // 000000019734: D1D30330 04C29348
	v_max3_f32 v48, |v74|, |v75|, v48                          // 00000001973C: D1D30330 04C2974A
	v_max3_f32 v48, |v76|, |v77|, v48                          // 000000019744: D1D30330 04C29B4C
	v_max3_f32 v48, |v78|, |v79|, v48                          // 00000001974C: D1D30330 04C29F4E
	v_rcp_f32_e32 v48, v48                                     // 000000019754: 7E604530
	s_nop 1                                                    // 000000019758: BF800001
	v_mul_f32_e32 v48, 0x43e00000, v48                         // 00000001975C: 0A6060FF 43E00000
	v_mul_f32_e32 v80, v48, v80                                // 000000019764: 0AA0A130
	v_mul_f32_e32 v81, v48, v81                                // 000000019768: 0AA2A330
	v_mul_f32_e32 v82, v48, v82                                // 00000001976C: 0AA4A530
	v_mul_f32_e32 v83, v48, v83                                // 000000019770: 0AA6A730
	v_mul_f32_e32 v84, v48, v84                                // 000000019774: 0AA8A930
	v_mul_f32_e32 v85, v48, v85                                // 000000019778: 0AAAAB30
	v_mul_f32_e32 v86, v48, v86                                // 00000001977C: 0AACAD30
	v_mul_f32_e32 v87, v48, v87                                // 000000019780: 0AAEAF30
	v_rcp_f32_e32 v18, v48                                     // 000000019784: 7E244530
	v_cvt_pk_fp8_f32 v80, v80, v81                             // 000000019788: D2A20050 0002A350
	v_cvt_pk_fp8_f32 v80, v82, v83 op_sel:[0,0,1]              // 000000019790: D2A24050 0002A752
	v_cvt_pk_fp8_f32 v81, v84, v85                             // 000000019798: D2A20051 0002AB54
	v_cvt_pk_fp8_f32 v81, v86, v87 op_sel:[0,0,1]              // 0000000197A0: D2A24051 0002AF56
	ds_write_b32 v10, v80 offset:25088                         // 0000000197A8: D81A6200 0000500A
	ds_write_b32 v10, v81 offset:26112                         // 0000000197B0: D81A6600 0000510A
	s_waitcnt lgkmcnt(0)                                       // 0000000197B8: BF8CC07F
	s_barrier                                                  // 0000000197BC: BF8A0000
	ds_read_b64 v[80:81], v9 offset:25088                      // 0000000197C0: D8EC6200 50000009
	ds_read_b64 v[82:83], v9 offset:25216                      // 0000000197C8: D8EC6280 52000009
	ds_read_b64 v[84:85], v9 offset:26112                      // 0000000197D0: D8EC6600 54000009
	ds_read_b64 v[86:87], v9 offset:26240                      // 0000000197D8: D8EC6680 56000009
	v_mov_b32_e32 v208, 0                                      // 0000000197E0: 7FA00280
	v_mov_b32_e32 v209, 0                                      // 0000000197E4: 7FA20280
	v_mov_b32_e32 v210, 0                                      // 0000000197E8: 7FA40280
	v_mov_b32_e32 v211, 0                                      // 0000000197EC: 7FA60280
	v_mov_b32_e32 v212, 0                                      // 0000000197F0: 7FA80280
	v_mov_b32_e32 v213, 0                                      // 0000000197F4: 7FAA0280
	v_mov_b32_e32 v214, 0                                      // 0000000197F8: 7FAC0280
	v_mov_b32_e32 v215, 0                                      // 0000000197FC: 7FAE0280
	v_mov_b32_e32 v176, 0                                      // 000000019800: 7F600280
	v_mov_b32_e32 v177, 0                                      // 000000019804: 7F620280
	v_mov_b32_e32 v178, 0                                      // 000000019808: 7F640280
	v_mov_b32_e32 v179, 0                                      // 00000001980C: 7F660280
	v_mov_b32_e32 v180, 0                                      // 000000019810: 7F680280
	v_mov_b32_e32 v181, 0                                      // 000000019814: 7F6A0280
	v_mov_b32_e32 v182, 0                                      // 000000019818: 7F6C0280
	v_mov_b32_e32 v183, 0                                      // 00000001981C: 7F6E0280
	ds_read_b64 v[88:89], v4 offset:4224                       // 000000019820: D8EC1080 58000004
	ds_read_b64 v[92:93], v4 offset:4352                       // 000000019828: D8EC1100 5C000004
	s_waitcnt lgkmcnt(0)                                       // 000000019830: BF8CC07F
	v_and_b32_e32 v91, 0xffff0000, v89                         // 000000019834: 26B6B2FF FFFF0000
	v_lshlrev_b32_e32 v90, 16, v89                             // 00000001983C: 24B4B290
	v_and_b32_e32 v89, 0xffff0000, v88                         // 000000019840: 26B2B0FF FFFF0000
	v_lshlrev_b32_e32 v88, 16, v88                             // 000000019848: 24B0B090
	v_and_b32_e32 v95, 0xffff0000, v93                         // 00000001984C: 26BEBAFF FFFF0000
	v_lshlrev_b32_e32 v94, 16, v93                             // 000000019854: 24BCBA90
	v_and_b32_e32 v93, 0xffff0000, v92                         // 000000019858: 26BAB8FF FFFF0000
	v_lshlrev_b32_e32 v92, 16, v92                             // 000000019860: 24B8B890
	v_mov_b32_e32 v48, 0x358637bd                              // 000000019864: 7E6002FF 358637BD
	v_max3_f32 v48, |v88|, |v89|, v48                          // 00000001986C: D1D30330 04C2B358
	v_max3_f32 v48, |v90|, |v91|, v48                          // 000000019874: D1D30330 04C2B75A
	v_max3_f32 v48, |v92|, |v93|, v48                          // 00000001987C: D1D30330 04C2BB5C
	v_max3_f32 v48, |v94|, |v95|, v48                          // 000000019884: D1D30330 04C2BF5E
	ds_write_b32 v8, v48 offset:16896                          // 00000001988C: D81A4200 00003008
	s_waitcnt lgkmcnt(0)                                       // 000000019894: BF8CC07F
	s_barrier                                                  // 000000019898: BF8A0000
	ds_read_b32 v64, v7 offset:16896                           // 00000001989C: D86C4200 40000007
	ds_read_b32 v65, v7 offset:16960                           // 0000000198A4: D86C4240 41000007
	ds_read_b32 v66, v7 offset:17024                           // 0000000198AC: D86C4280 42000007
	ds_read_b32 v67, v7 offset:17088                           // 0000000198B4: D86C42C0 43000007
	ds_read_b32 v68, v7 offset:17152                           // 0000000198BC: D86C4300 44000007
	ds_read_b32 v69, v7 offset:17216                           // 0000000198C4: D86C4340 45000007
	ds_read_b32 v70, v7 offset:17280                           // 0000000198CC: D86C4380 46000007
	ds_read_b32 v71, v7 offset:17344                           // 0000000198D4: D86C43C0 47000007
	ds_read_b32 v72, v7 offset:17408                           // 0000000198DC: D86C4400 48000007
	ds_read_b32 v73, v7 offset:17472                           // 0000000198E4: D86C4440 49000007
	ds_read_b32 v74, v7 offset:17536                           // 0000000198EC: D86C4480 4A000007
	ds_read_b32 v75, v7 offset:17600                           // 0000000198F4: D86C44C0 4B000007
	ds_read_b32 v76, v7 offset:17664                           // 0000000198FC: D86C4500 4C000007
	ds_read_b32 v77, v7 offset:17728                           // 000000019904: D86C4540 4D000007
	ds_read_b32 v78, v7 offset:17792                           // 00000001990C: D86C4580 4E000007
	ds_read_b32 v79, v7 offset:17856                           // 000000019914: D86C45C0 4F000007
	s_waitcnt lgkmcnt(0)                                       // 00000001991C: BF8CC07F
	v_max3_f32 v48, |v64|, |v65|, v48                          // 000000019920: D1D30330 04C28340
	v_max3_f32 v48, |v66|, |v67|, v48                          // 000000019928: D1D30330 04C28742
	v_max3_f32 v48, |v68|, |v69|, v48                          // 000000019930: D1D30330 04C28B44
	v_max3_f32 v48, |v70|, |v71|, v48                          // 000000019938: D1D30330 04C28F46
	v_max3_f32 v48, |v72|, |v73|, v48                          // 000000019940: D1D30330 04C29348
	v_max3_f32 v48, |v74|, |v75|, v48                          // 000000019948: D1D30330 04C2974A
	v_max3_f32 v48, |v76|, |v77|, v48                          // 000000019950: D1D30330 04C29B4C
	v_max3_f32 v48, |v78|, |v79|, v48                          // 000000019958: D1D30330 04C29F4E
	v_rcp_f32_e32 v48, v48                                     // 000000019960: 7E604530
	s_nop 1                                                    // 000000019964: BF800001
	v_mul_f32_e32 v48, 0x43e00000, v48                         // 000000019968: 0A6060FF 43E00000
	v_mul_f32_e32 v88, v48, v88                                // 000000019970: 0AB0B130
	v_mul_f32_e32 v89, v48, v89                                // 000000019974: 0AB2B330
	v_mul_f32_e32 v90, v48, v90                                // 000000019978: 0AB4B530
	v_mul_f32_e32 v91, v48, v91                                // 00000001997C: 0AB6B730
	v_mul_f32_e32 v92, v48, v92                                // 000000019980: 0AB8B930
	v_mul_f32_e32 v93, v48, v93                                // 000000019984: 0ABABB30
	v_mul_f32_e32 v94, v48, v94                                // 000000019988: 0ABCBD30
	v_mul_f32_e32 v95, v48, v95                                // 00000001998C: 0ABEBF30
	v_rcp_f32_e32 v19, v48                                     // 000000019990: 7E264530
	v_cvt_pk_fp8_f32 v88, v88, v89                             // 000000019994: D2A20058 0002B358
	v_cvt_pk_fp8_f32 v88, v90, v91 op_sel:[0,0,1]              // 00000001999C: D2A24058 0002B75A
	v_cvt_pk_fp8_f32 v89, v92, v93                             // 0000000199A4: D2A20059 0002BB5C
	v_cvt_pk_fp8_f32 v89, v94, v95 op_sel:[0,0,1]              // 0000000199AC: D2A24059 0002BF5E
	ds_write_b32 v10, v88 offset:25088                         // 0000000199B4: D81A6200 0000580A
	ds_write_b32 v10, v89 offset:26112                         // 0000000199BC: D81A6600 0000590A
	s_waitcnt lgkmcnt(0)                                       // 0000000199C4: BF8CC07F
	s_barrier                                                  // 0000000199C8: BF8A0000
	ds_read_b64 v[88:89], v9 offset:25088                      // 0000000199CC: D8EC6200 58000009
	ds_read_b64 v[90:91], v9 offset:25216                      // 0000000199D4: D8EC6280 5A000009
	ds_read_b64 v[92:93], v9 offset:26112                      // 0000000199DC: D8EC6600 5C000009
	ds_read_b64 v[94:95], v9 offset:26240                      // 0000000199E4: D8EC6680 5E000009
	v_mov_b32_e32 v216, 0                                      // 0000000199EC: 7FB00280
	v_mov_b32_e32 v217, 0                                      // 0000000199F0: 7FB20280
	v_mov_b32_e32 v218, 0                                      // 0000000199F4: 7FB40280
	v_mov_b32_e32 v219, 0                                      // 0000000199F8: 7FB60280
	v_mov_b32_e32 v220, 0                                      // 0000000199FC: 7FB80280
	v_mov_b32_e32 v221, 0                                      // 000000019A00: 7FBA0280
	v_mov_b32_e32 v222, 0                                      // 000000019A04: 7FBC0280
	v_mov_b32_e32 v223, 0                                      // 000000019A08: 7FBE0280
	v_mov_b32_e32 v184, 0                                      // 000000019A0C: 7F700280
	v_mov_b32_e32 v185, 0                                      // 000000019A10: 7F720280
	v_mov_b32_e32 v186, 0                                      // 000000019A14: 7F740280
	v_mov_b32_e32 v187, 0                                      // 000000019A18: 7F760280
	v_mov_b32_e32 v188, 0                                      // 000000019A1C: 7F780280
	v_mov_b32_e32 v189, 0                                      // 000000019A20: 7F7A0280
	v_mov_b32_e32 v190, 0                                      // 000000019A24: 7F7C0280
	v_mov_b32_e32 v191, 0                                      // 000000019A28: 7F7E0280
	ds_read_b64 v[96:97], v4 offset:8448                       // 000000019A2C: D8EC2100 60000004
	ds_read_b64 v[100:101], v4 offset:8576                     // 000000019A34: D8EC2180 64000004
	s_waitcnt lgkmcnt(0)                                       // 000000019A3C: BF8CC07F
	v_and_b32_e32 v99, 0xffff0000, v97                         // 000000019A40: 26C6C2FF FFFF0000
	v_lshlrev_b32_e32 v98, 16, v97                             // 000000019A48: 24C4C290
	v_and_b32_e32 v97, 0xffff0000, v96                         // 000000019A4C: 26C2C0FF FFFF0000
	v_lshlrev_b32_e32 v96, 16, v96                             // 000000019A54: 24C0C090
	v_and_b32_e32 v103, 0xffff0000, v101                       // 000000019A58: 26CECAFF FFFF0000
	v_lshlrev_b32_e32 v102, 16, v101                           // 000000019A60: 24CCCA90
	v_and_b32_e32 v101, 0xffff0000, v100                       // 000000019A64: 26CAC8FF FFFF0000
	v_lshlrev_b32_e32 v100, 16, v100                           // 000000019A6C: 24C8C890
	v_mov_b32_e32 v48, 0x358637bd                              // 000000019A70: 7E6002FF 358637BD
	v_max3_f32 v48, |v96|, |v97|, v48                          // 000000019A78: D1D30330 04C2C360
	v_max3_f32 v48, |v98|, |v99|, v48                          // 000000019A80: D1D30330 04C2C762
	v_max3_f32 v48, |v100|, |v101|, v48                        // 000000019A88: D1D30330 04C2CB64
	v_max3_f32 v48, |v102|, |v103|, v48                        // 000000019A90: D1D30330 04C2CF66
	ds_write_b32 v8, v48 offset:16896                          // 000000019A98: D81A4200 00003008
	s_waitcnt lgkmcnt(0)                                       // 000000019AA0: BF8CC07F
	s_barrier                                                  // 000000019AA4: BF8A0000
	ds_read_b32 v64, v7 offset:16896                           // 000000019AA8: D86C4200 40000007
	ds_read_b32 v65, v7 offset:16960                           // 000000019AB0: D86C4240 41000007
	ds_read_b32 v66, v7 offset:17024                           // 000000019AB8: D86C4280 42000007
	ds_read_b32 v67, v7 offset:17088                           // 000000019AC0: D86C42C0 43000007
	ds_read_b32 v68, v7 offset:17152                           // 000000019AC8: D86C4300 44000007
	ds_read_b32 v69, v7 offset:17216                           // 000000019AD0: D86C4340 45000007
	ds_read_b32 v70, v7 offset:17280                           // 000000019AD8: D86C4380 46000007
	ds_read_b32 v71, v7 offset:17344                           // 000000019AE0: D86C43C0 47000007
	ds_read_b32 v72, v7 offset:17408                           // 000000019AE8: D86C4400 48000007
	ds_read_b32 v73, v7 offset:17472                           // 000000019AF0: D86C4440 49000007
	ds_read_b32 v74, v7 offset:17536                           // 000000019AF8: D86C4480 4A000007
	ds_read_b32 v75, v7 offset:17600                           // 000000019B00: D86C44C0 4B000007
	ds_read_b32 v76, v7 offset:17664                           // 000000019B08: D86C4500 4C000007
	ds_read_b32 v77, v7 offset:17728                           // 000000019B10: D86C4540 4D000007
	ds_read_b32 v78, v7 offset:17792                           // 000000019B18: D86C4580 4E000007
	ds_read_b32 v79, v7 offset:17856                           // 000000019B20: D86C45C0 4F000007
	s_waitcnt lgkmcnt(0)                                       // 000000019B28: BF8CC07F
	v_max3_f32 v48, |v64|, |v65|, v48                          // 000000019B2C: D1D30330 04C28340
	v_max3_f32 v48, |v66|, |v67|, v48                          // 000000019B34: D1D30330 04C28742
	v_max3_f32 v48, |v68|, |v69|, v48                          // 000000019B3C: D1D30330 04C28B44
	v_max3_f32 v48, |v70|, |v71|, v48                          // 000000019B44: D1D30330 04C28F46
	v_max3_f32 v48, |v72|, |v73|, v48                          // 000000019B4C: D1D30330 04C29348
	v_max3_f32 v48, |v74|, |v75|, v48                          // 000000019B54: D1D30330 04C2974A
	v_max3_f32 v48, |v76|, |v77|, v48                          // 000000019B5C: D1D30330 04C29B4C
	v_max3_f32 v48, |v78|, |v79|, v48                          // 000000019B64: D1D30330 04C29F4E
	v_rcp_f32_e32 v48, v48                                     // 000000019B6C: 7E604530
	s_nop 1                                                    // 000000019B70: BF800001
	v_mul_f32_e32 v48, 0x43e00000, v48                         // 000000019B74: 0A6060FF 43E00000
	v_mul_f32_e32 v96, v48, v96                                // 000000019B7C: 0AC0C130
	v_mul_f32_e32 v97, v48, v97                                // 000000019B80: 0AC2C330
	v_mul_f32_e32 v98, v48, v98                                // 000000019B84: 0AC4C530
	v_mul_f32_e32 v99, v48, v99                                // 000000019B88: 0AC6C730
	v_mul_f32_e32 v100, v48, v100                              // 000000019B8C: 0AC8C930
	v_mul_f32_e32 v101, v48, v101                              // 000000019B90: 0ACACB30
	v_mul_f32_e32 v102, v48, v102                              // 000000019B94: 0ACCCD30
	v_mul_f32_e32 v103, v48, v103                              // 000000019B98: 0ACECF30
	v_rcp_f32_e32 v20, v48                                     // 000000019B9C: 7E284530
	v_cvt_pk_fp8_f32 v96, v96, v97                             // 000000019BA0: D2A20060 0002C360
	v_cvt_pk_fp8_f32 v96, v98, v99 op_sel:[0,0,1]              // 000000019BA8: D2A24060 0002C762
	v_cvt_pk_fp8_f32 v97, v100, v101                           // 000000019BB0: D2A20061 0002CB64
	v_cvt_pk_fp8_f32 v97, v102, v103 op_sel:[0,0,1]            // 000000019BB8: D2A24061 0002CF66
	ds_write_b32 v10, v96 offset:25088                         // 000000019BC0: D81A6200 0000600A
	ds_write_b32 v10, v97 offset:26112                         // 000000019BC8: D81A6600 0000610A
	s_waitcnt lgkmcnt(0)                                       // 000000019BD0: BF8CC07F
	s_barrier                                                  // 000000019BD4: BF8A0000
	ds_read_b64 v[96:97], v9 offset:25088                      // 000000019BD8: D8EC6200 60000009
	ds_read_b64 v[98:99], v9 offset:25216                      // 000000019BE0: D8EC6280 62000009
	ds_read_b64 v[100:101], v9 offset:26112                    // 000000019BE8: D8EC6600 64000009
	ds_read_b64 v[102:103], v9 offset:26240                    // 000000019BF0: D8EC6680 66000009
	v_mov_b32_e32 v224, 0                                      // 000000019BF8: 7FC00280
	v_mov_b32_e32 v225, 0                                      // 000000019BFC: 7FC20280
	v_mov_b32_e32 v226, 0                                      // 000000019C00: 7FC40280
	v_mov_b32_e32 v227, 0                                      // 000000019C04: 7FC60280
	v_mov_b32_e32 v228, 0                                      // 000000019C08: 7FC80280
	v_mov_b32_e32 v229, 0                                      // 000000019C0C: 7FCA0280
	v_mov_b32_e32 v230, 0                                      // 000000019C10: 7FCC0280
	v_mov_b32_e32 v231, 0                                      // 000000019C14: 7FCE0280
	v_mov_b32_e32 v192, 0                                      // 000000019C18: 7F800280
	v_mov_b32_e32 v193, 0                                      // 000000019C1C: 7F820280
	v_mov_b32_e32 v194, 0                                      // 000000019C20: 7F840280
	v_mov_b32_e32 v195, 0                                      // 000000019C24: 7F860280
	v_mov_b32_e32 v196, 0                                      // 000000019C28: 7F880280
	v_mov_b32_e32 v197, 0                                      // 000000019C2C: 7F8A0280
	v_mov_b32_e32 v198, 0                                      // 000000019C30: 7F8C0280
	v_mov_b32_e32 v199, 0                                      // 000000019C34: 7F8E0280
	ds_read_b64 v[104:105], v4 offset:12672                    // 000000019C38: D8EC3180 68000004
	ds_read_b64 v[108:109], v4 offset:12800                    // 000000019C40: D8EC3200 6C000004
	s_waitcnt lgkmcnt(0)                                       // 000000019C48: BF8CC07F
	v_and_b32_e32 v107, 0xffff0000, v105                       // 000000019C4C: 26D6D2FF FFFF0000
	v_lshlrev_b32_e32 v106, 16, v105                           // 000000019C54: 24D4D290
	v_and_b32_e32 v105, 0xffff0000, v104                       // 000000019C58: 26D2D0FF FFFF0000
	v_lshlrev_b32_e32 v104, 16, v104                           // 000000019C60: 24D0D090
	v_and_b32_e32 v111, 0xffff0000, v109                       // 000000019C64: 26DEDAFF FFFF0000
	v_lshlrev_b32_e32 v110, 16, v109                           // 000000019C6C: 24DCDA90
	v_and_b32_e32 v109, 0xffff0000, v108                       // 000000019C70: 26DAD8FF FFFF0000
	v_lshlrev_b32_e32 v108, 16, v108                           // 000000019C78: 24D8D890
	v_mov_b32_e32 v48, 0x358637bd                              // 000000019C7C: 7E6002FF 358637BD
	v_max3_f32 v48, |v104|, |v105|, v48                        // 000000019C84: D1D30330 04C2D368
	v_max3_f32 v48, |v106|, |v107|, v48                        // 000000019C8C: D1D30330 04C2D76A
	v_max3_f32 v48, |v108|, |v109|, v48                        // 000000019C94: D1D30330 04C2DB6C
	v_max3_f32 v48, |v110|, |v111|, v48                        // 000000019C9C: D1D30330 04C2DF6E
	ds_write_b32 v8, v48 offset:16896                          // 000000019CA4: D81A4200 00003008
	s_waitcnt lgkmcnt(0)                                       // 000000019CAC: BF8CC07F
	s_barrier                                                  // 000000019CB0: BF8A0000
	ds_read_b32 v64, v7 offset:16896                           // 000000019CB4: D86C4200 40000007
	ds_read_b32 v65, v7 offset:16960                           // 000000019CBC: D86C4240 41000007
	ds_read_b32 v66, v7 offset:17024                           // 000000019CC4: D86C4280 42000007
	ds_read_b32 v67, v7 offset:17088                           // 000000019CCC: D86C42C0 43000007
	ds_read_b32 v68, v7 offset:17152                           // 000000019CD4: D86C4300 44000007
	ds_read_b32 v69, v7 offset:17216                           // 000000019CDC: D86C4340 45000007
	ds_read_b32 v70, v7 offset:17280                           // 000000019CE4: D86C4380 46000007
	ds_read_b32 v71, v7 offset:17344                           // 000000019CEC: D86C43C0 47000007
	ds_read_b32 v72, v7 offset:17408                           // 000000019CF4: D86C4400 48000007
	ds_read_b32 v73, v7 offset:17472                           // 000000019CFC: D86C4440 49000007
	ds_read_b32 v74, v7 offset:17536                           // 000000019D04: D86C4480 4A000007
	ds_read_b32 v75, v7 offset:17600                           // 000000019D0C: D86C44C0 4B000007
	ds_read_b32 v76, v7 offset:17664                           // 000000019D14: D86C4500 4C000007
	ds_read_b32 v77, v7 offset:17728                           // 000000019D1C: D86C4540 4D000007
	ds_read_b32 v78, v7 offset:17792                           // 000000019D24: D86C4580 4E000007
	ds_read_b32 v79, v7 offset:17856                           // 000000019D2C: D86C45C0 4F000007
	s_waitcnt lgkmcnt(0)                                       // 000000019D34: BF8CC07F
	v_max3_f32 v48, |v64|, |v65|, v48                          // 000000019D38: D1D30330 04C28340
	v_max3_f32 v48, |v66|, |v67|, v48                          // 000000019D40: D1D30330 04C28742
	v_max3_f32 v48, |v68|, |v69|, v48                          // 000000019D48: D1D30330 04C28B44
	v_max3_f32 v48, |v70|, |v71|, v48                          // 000000019D50: D1D30330 04C28F46
	v_max3_f32 v48, |v72|, |v73|, v48                          // 000000019D58: D1D30330 04C29348
	v_max3_f32 v48, |v74|, |v75|, v48                          // 000000019D60: D1D30330 04C2974A
	v_max3_f32 v48, |v76|, |v77|, v48                          // 000000019D68: D1D30330 04C29B4C
	v_max3_f32 v48, |v78|, |v79|, v48                          // 000000019D70: D1D30330 04C29F4E
	v_rcp_f32_e32 v48, v48                                     // 000000019D78: 7E604530
	s_nop 1                                                    // 000000019D7C: BF800001
	v_mul_f32_e32 v48, 0x43e00000, v48                         // 000000019D80: 0A6060FF 43E00000
	v_mul_f32_e32 v104, v48, v104                              // 000000019D88: 0AD0D130
	v_mul_f32_e32 v105, v48, v105                              // 000000019D8C: 0AD2D330
	v_mul_f32_e32 v106, v48, v106                              // 000000019D90: 0AD4D530
	v_mul_f32_e32 v107, v48, v107                              // 000000019D94: 0AD6D730
	v_mul_f32_e32 v108, v48, v108                              // 000000019D98: 0AD8D930
	v_mul_f32_e32 v109, v48, v109                              // 000000019D9C: 0ADADB30
	v_mul_f32_e32 v110, v48, v110                              // 000000019DA0: 0ADCDD30
	v_mul_f32_e32 v111, v48, v111                              // 000000019DA4: 0ADEDF30
	v_rcp_f32_e32 v21, v48                                     // 000000019DA8: 7E2A4530
	v_cvt_pk_fp8_f32 v104, v104, v105                          // 000000019DAC: D2A20068 0002D368
	v_cvt_pk_fp8_f32 v104, v106, v107 op_sel:[0,0,1]           // 000000019DB4: D2A24068 0002D76A
	v_cvt_pk_fp8_f32 v105, v108, v109                          // 000000019DBC: D2A20069 0002DB6C
	v_cvt_pk_fp8_f32 v105, v110, v111 op_sel:[0,0,1]           // 000000019DC4: D2A24069 0002DF6E
	ds_write_b32 v10, v104 offset:25088                        // 000000019DCC: D81A6200 0000680A
	ds_write_b32 v10, v105 offset:26112                        // 000000019DD4: D81A6600 0000690A
	s_waitcnt lgkmcnt(0)                                       // 000000019DDC: BF8CC07F
	s_barrier                                                  // 000000019DE0: BF8A0000
	ds_read_b64 v[104:105], v9 offset:25088                    // 000000019DE4: D8EC6200 68000009
	ds_read_b64 v[106:107], v9 offset:25216                    // 000000019DEC: D8EC6280 6A000009
	ds_read_b64 v[108:109], v9 offset:26112                    // 000000019DF4: D8EC6600 6C000009
	ds_read_b64 v[110:111], v9 offset:26240                    // 000000019DFC: D8EC6680 6E000009
	v_mov_b32_e32 v232, 0                                      // 000000019E04: 7FD00280
	v_mov_b32_e32 v233, 0                                      // 000000019E08: 7FD20280
	v_mov_b32_e32 v234, 0                                      // 000000019E0C: 7FD40280
	v_mov_b32_e32 v235, 0                                      // 000000019E10: 7FD60280
	v_mov_b32_e32 v236, 0                                      // 000000019E14: 7FD80280
	v_mov_b32_e32 v237, 0                                      // 000000019E18: 7FDA0280
	v_mov_b32_e32 v238, 0                                      // 000000019E1C: 7FDC0280
	v_mov_b32_e32 v239, 0                                      // 000000019E20: 7FDE0280
	v_mov_b32_e32 v200, 0                                      // 000000019E24: 7F900280
	v_mov_b32_e32 v201, 0                                      // 000000019E28: 7F920280
	v_mov_b32_e32 v202, 0                                      // 000000019E2C: 7F940280
	v_mov_b32_e32 v203, 0                                      // 000000019E30: 7F960280
	v_mov_b32_e32 v204, 0                                      // 000000019E34: 7F980280
	v_mov_b32_e32 v205, 0                                      // 000000019E38: 7F9A0280
	v_mov_b32_e32 v206, 0                                      // 000000019E3C: 7F9C0280
	v_mov_b32_e32 v207, 0                                      // 000000019E40: 7F9E0280
	s_waitcnt vmcnt(8) lgkmcnt(0)                              // 000000019E44: BF8C0078
	s_barrier                                                  // 000000019E48: BF8A0000
	s_cmp_lt_u32 s73, 16                                       // 000000019E4C: BF0A9049
	s_cbranch_scc1 label_7FD4                                  // 000000019E50: BF8520BF
	s_cmp_lt_i32 s7, 2                                         // 000000019E54: BF048207
	s_cbranch_scc0 label_6F77                                  // 000000019E58: BF841060

0000000000019e5c <label_5F17>:
	s_waitcnt vmcnt(8) lgkmcnt(0)                              // 000000019E5C: BF8C0078
	v_mul_u32_u24_dpp v64, v17, v54 row_newbcast:0 row_mask:0xf bank_mask:0xf// 000000019E60: 10806CFA FF015011
	v_mul_u32_u24_dpp v65, v17, v54 row_newbcast:4 row_mask:0xf bank_mask:0xf// 000000019E68: 10826CFA FF015411
	v_mul_u32_u24_dpp v66, v17, v54 row_newbcast:8 row_mask:0xf bank_mask:0xf// 000000019E70: 10846CFA FF015811
	v_mul_u32_u24_dpp v67, v17, v54 row_newbcast:12 row_mask:0xf bank_mask:0xf// 000000019E78: 10866CFA FF015C11
	v_add_u32_e32 v26, v64, v5                                 // 000000019E80: 68340B40
	v_add_u32_e32 v27, v65, v5                                 // 000000019E84: 68360B41
	v_add_u32_e32 v28, v66, v5                                 // 000000019E88: 68380B42
	v_add_u32_e32 v29, v67, v5                                 // 000000019E8C: 683A0B43
	v_mul_u32_u24_dpp v64, v17, v63 quad_perm:[0,0,0,0] row_mask:0xf bank_mask:0xf// 000000019E90: 10807EFA FF000011
	v_add_u32_e32 v3, v64, v59                                 // 000000019E98: 68067740
	v_mul_u32_u24_dpp v64, v17, v63 quad_perm:[0,0,0,0] row_mask:0xf bank_mask:0xf// 000000019E9C: 10807EFA FF000011
	v_add_u32_e32 v56, v64, v60                                // 000000019EA4: 68707940
	v_mfma_f32_16x16x32_fp8_fp8 v[112:115], a[0:1], v[80:81], 0// 000000019EA8: D3F30070 0A02A100
	v_mfma_f32_16x16x32_fp8_fp8 v[112:115], a[2:3], v[82:83], v[112:115]// 000000019EB0: D3F30070 0DC2A502
	buffer_load_dwordx4 a[32:35], v26, s[16:19], 0 offen       // 000000019EB8: E05C1000 8084201A
	v_mfma_f32_16x16x32_fp8_fp8 v[112:115], a[4:5], v[84:85], v[112:115]// 000000019EC0: D3F30070 0DC2A904
	v_mfma_f32_16x16x32_fp8_fp8 v[112:115], a[6:7], v[86:87], v[112:115]// 000000019EC8: D3F30070 0DC2AD06
	buffer_load_dword v16, v1, s[24:27], 0 offen               // 000000019ED0: E0501000 80061001
	v_mfma_f32_16x16x32_fp8_fp8 v[116:119], a[8:9], v[80:81], 0// 000000019ED8: D3F30074 0A02A108
	v_mfma_f32_16x16x32_fp8_fp8 v[116:119], a[10:11], v[82:83], v[116:119]// 000000019EE0: D3F30074 0DD2A50A
	buffer_load_dwordx4 a[36:39], v26, s[16:19], 0 offen offset:1024// 000000019EE8: E05C1400 8084241A
	v_mfma_f32_16x16x32_fp8_fp8 v[116:119], a[12:13], v[84:85], v[116:119]// 000000019EF0: D3F30074 0DD2A90C
	v_mfma_f32_16x16x32_fp8_fp8 v[116:119], a[14:15], v[86:87], v[116:119]// 000000019EF8: D3F30074 0DD2AD0E
	v_mfma_f32_16x16x32_fp8_fp8 v[120:123], a[16:17], v[80:81], 0// 000000019F00: D3F30078 0A02A110
	v_mfma_f32_16x16x32_fp8_fp8 v[120:123], a[18:19], v[82:83], v[120:123]// 000000019F08: D3F30078 0DE2A512
	buffer_load_dwordx4 a[40:43], v27, s[16:19], 0 offen       // 000000019F10: E05C1000 8084281B
	v_mfma_f32_16x16x32_fp8_fp8 v[120:123], a[20:21], v[84:85], v[120:123]// 000000019F18: D3F30078 0DE2A914
	v_mfma_f32_16x16x32_fp8_fp8 v[120:123], a[22:23], v[86:87], v[120:123]// 000000019F20: D3F30078 0DE2AD16
	v_mfma_f32_16x16x32_fp8_fp8 v[124:127], a[24:25], v[80:81], 0// 000000019F28: D3F3007C 0A02A118
	v_mfma_f32_16x16x32_fp8_fp8 v[124:127], a[26:27], v[82:83], v[124:127]// 000000019F30: D3F3007C 0DF2A51A
	buffer_load_dwordx4 a[44:47], v27, s[16:19], 0 offen offset:1024// 000000019F38: E05C1400 80842C1B
	v_mfma_f32_16x16x32_fp8_fp8 v[124:127], a[28:29], v[84:85], v[124:127]// 000000019F40: D3F3007C 0DF2A91C
	v_mfma_f32_16x16x32_fp8_fp8 v[124:127], a[30:31], v[86:87], v[124:127]// 000000019F48: D3F3007C 0DF2AD1E
	v_mfma_f32_16x16x32_fp8_fp8 v[128:131], a[0:1], v[88:89], 0// 000000019F50: D3F30080 0A02B100
	v_mfma_f32_16x16x32_fp8_fp8 v[128:131], a[2:3], v[90:91], v[128:131]// 000000019F58: D3F30080 0E02B502
	v_mfma_f32_16x16x32_fp8_fp8 v[128:131], a[4:5], v[92:93], v[128:131]// 000000019F60: D3F30080 0E02B904
	v_mfma_f32_16x16x32_fp8_fp8 v[128:131], a[6:7], v[94:95], v[128:131]// 000000019F68: D3F30080 0E02BD06
	v_mfma_f32_16x16x32_fp8_fp8 v[132:135], a[8:9], v[88:89], 0// 000000019F70: D3F30084 0A02B108
	v_mfma_f32_16x16x32_fp8_fp8 v[132:135], a[10:11], v[90:91], v[132:135]// 000000019F78: D3F30084 0E12B50A
	v_mfma_f32_16x16x32_fp8_fp8 v[132:135], a[12:13], v[92:93], v[132:135]// 000000019F80: D3F30084 0E12B90C
	v_mfma_f32_16x16x32_fp8_fp8 v[132:135], a[14:15], v[94:95], v[132:135]// 000000019F88: D3F30084 0E12BD0E
	v_mfma_f32_16x16x32_fp8_fp8 v[136:139], a[16:17], v[88:89], 0// 000000019F90: D3F30088 0A02B110
	v_mfma_f32_16x16x32_fp8_fp8 v[136:139], a[18:19], v[90:91], v[136:139]// 000000019F98: D3F30088 0E22B512
	v_mfma_f32_16x16x32_fp8_fp8 v[136:139], a[20:21], v[92:93], v[136:139]// 000000019FA0: D3F30088 0E22B914
	v_mfma_f32_16x16x32_fp8_fp8 v[136:139], a[22:23], v[94:95], v[136:139]// 000000019FA8: D3F30088 0E22BD16
	v_mfma_f32_16x16x32_fp8_fp8 v[140:143], a[24:25], v[88:89], 0// 000000019FB0: D3F3008C 0A02B118
	v_mfma_f32_16x16x32_fp8_fp8 v[140:143], a[26:27], v[90:91], v[140:143]// 000000019FB8: D3F3008C 0E32B51A
	v_mfma_f32_16x16x32_fp8_fp8 v[140:143], a[28:29], v[92:93], v[140:143]// 000000019FC0: D3F3008C 0E32B91C
	v_mfma_f32_16x16x32_fp8_fp8 v[140:143], a[30:31], v[94:95], v[140:143]// 000000019FC8: D3F3008C 0E32BD1E
	v_mfma_f32_16x16x32_fp8_fp8 v[144:147], a[0:1], v[96:97], 0// 000000019FD0: D3F30090 0A02C100
	v_mfma_f32_16x16x32_fp8_fp8 v[144:147], a[2:3], v[98:99], v[144:147]// 000000019FD8: D3F30090 0E42C502
	v_mfma_f32_16x16x32_fp8_fp8 v[144:147], a[4:5], v[100:101], v[144:147]// 000000019FE0: D3F30090 0E42C904
	v_mfma_f32_16x16x32_fp8_fp8 v[144:147], a[6:7], v[102:103], v[144:147]// 000000019FE8: D3F30090 0E42CD06
	v_mfma_f32_16x16x32_fp8_fp8 v[148:151], a[8:9], v[96:97], 0// 000000019FF0: D3F30094 0A02C108
	v_mfma_f32_16x16x32_fp8_fp8 v[148:151], a[10:11], v[98:99], v[148:151]// 000000019FF8: D3F30094 0E52C50A
	v_mfma_f32_16x16x32_fp8_fp8 v[148:151], a[12:13], v[100:101], v[148:151]// 00000001A000: D3F30094 0E52C90C
	v_mfma_f32_16x16x32_fp8_fp8 v[148:151], a[14:15], v[102:103], v[148:151]// 00000001A008: D3F30094 0E52CD0E
	v_mfma_f32_16x16x32_fp8_fp8 v[152:155], a[16:17], v[96:97], 0// 00000001A010: D3F30098 0A02C110
	v_mfma_f32_16x16x32_fp8_fp8 v[152:155], a[18:19], v[98:99], v[152:155]// 00000001A018: D3F30098 0E62C512
	v_mfma_f32_16x16x32_fp8_fp8 v[152:155], a[20:21], v[100:101], v[152:155]// 00000001A020: D3F30098 0E62C914
	v_mfma_f32_16x16x32_fp8_fp8 v[152:155], a[22:23], v[102:103], v[152:155]// 00000001A028: D3F30098 0E62CD16
	v_mfma_f32_16x16x32_fp8_fp8 v[156:159], a[24:25], v[96:97], 0// 00000001A030: D3F3009C 0A02C118
	v_mfma_f32_16x16x32_fp8_fp8 v[156:159], a[26:27], v[98:99], v[156:159]// 00000001A038: D3F3009C 0E72C51A
	v_mfma_f32_16x16x32_fp8_fp8 v[156:159], a[28:29], v[100:101], v[156:159]// 00000001A040: D3F3009C 0E72C91C
	v_mfma_f32_16x16x32_fp8_fp8 v[156:159], a[30:31], v[102:103], v[156:159]// 00000001A048: D3F3009C 0E72CD1E
	v_mfma_f32_16x16x32_fp8_fp8 v[160:163], a[0:1], v[104:105], 0// 00000001A050: D3F300A0 0A02D100
	v_mfma_f32_16x16x32_fp8_fp8 v[160:163], a[2:3], v[106:107], v[160:163]// 00000001A058: D3F300A0 0E82D502
	v_mfma_f32_16x16x32_fp8_fp8 v[160:163], a[4:5], v[108:109], v[160:163]// 00000001A060: D3F300A0 0E82D904
	v_mfma_f32_16x16x32_fp8_fp8 v[160:163], a[6:7], v[110:111], v[160:163]// 00000001A068: D3F300A0 0E82DD06
	v_mfma_f32_16x16x32_fp8_fp8 v[164:167], a[8:9], v[104:105], 0// 00000001A070: D3F300A4 0A02D108
	v_mfma_f32_16x16x32_fp8_fp8 v[164:167], a[10:11], v[106:107], v[164:167]// 00000001A078: D3F300A4 0E92D50A
	v_mfma_f32_16x16x32_fp8_fp8 v[164:167], a[12:13], v[108:109], v[164:167]// 00000001A080: D3F300A4 0E92D90C
	v_mfma_f32_16x16x32_fp8_fp8 v[164:167], a[14:15], v[110:111], v[164:167]// 00000001A088: D3F300A4 0E92DD0E
	v_mfma_f32_16x16x32_fp8_fp8 v[168:171], a[16:17], v[104:105], 0// 00000001A090: D3F300A8 0A02D110
	v_mfma_f32_16x16x32_fp8_fp8 v[168:171], a[18:19], v[106:107], v[168:171]// 00000001A098: D3F300A8 0EA2D512
	v_mfma_f32_16x16x32_fp8_fp8 v[168:171], a[20:21], v[108:109], v[168:171]// 00000001A0A0: D3F300A8 0EA2D914
	v_mfma_f32_16x16x32_fp8_fp8 v[168:171], a[22:23], v[110:111], v[168:171]// 00000001A0A8: D3F300A8 0EA2DD16
	v_mfma_f32_16x16x32_fp8_fp8 v[172:175], a[24:25], v[104:105], 0// 00000001A0B0: D3F300AC 0A02D118
	v_mfma_f32_16x16x32_fp8_fp8 v[172:175], a[26:27], v[106:107], v[172:175]// 00000001A0B8: D3F300AC 0EB2D51A
	v_mfma_f32_16x16x32_fp8_fp8 v[172:175], a[28:29], v[108:109], v[172:175]// 00000001A0C0: D3F300AC 0EB2D91C
	v_mfma_f32_16x16x32_fp8_fp8 v[172:175], a[30:31], v[110:111], v[172:175]// 00000001A0C8: D3F300AC 0EB2DD1E
	buffer_load_dword v43, v3, s[32:35], 0 offen               // 00000001A0D0: E0501000 80082B03
	v_mov_b32_dpp v64, v42 row_shr:4 row_mask:0xf bank_mask:0xf// 00000001A0D8: 7E8002FA FF01142A
	v_mov_b32_dpp v65, v42 row_shl:4 row_mask:0xf bank_mask:0xf// 00000001A0E0: 7E8202FA FF01042A
	v_cndmask_b32_e64 v248, v42, v64, s[44:45]                 // 00000001A0E8: D10000F8 00B2812A
	v_cndmask_b32_e64 v249, v65, v42, s[44:45]                 // 00000001A0F0: D10000F9 00B25541
	v_mov_b32_dpp v64, v248 row_shr:8 row_mask:0xf bank_mask:0xf// 00000001A0F8: 7E8002FA FF0118F8
	v_mov_b32_dpp v65, v248 row_shl:8 row_mask:0xf bank_mask:0xf// 00000001A100: 7E8202FA FF0108F8
	v_mov_b32_dpp v66, v249 row_shr:8 row_mask:0xf bank_mask:0xf// 00000001A108: 7E8402FA FF0118F9
	v_mov_b32_dpp v67, v249 row_shl:8 row_mask:0xf bank_mask:0xf// 00000001A110: 7E8602FA FF0108F9
	v_mov_b32_e32 v68, v248                                    // 00000001A118: 7E8803F8
	v_mov_b32_e32 v69, v249                                    // 00000001A11C: 7E8A03F9
	v_cndmask_b32_e64 v248, v68, v64, s[42:43]                 // 00000001A120: D10000F8 00AA8144
	v_cndmask_b32_e64 v250, v68, v65, s[78:79]                 // 00000001A128: D10000FA 013A8344
	v_cndmask_b32_e64 v249, v69, v66, s[42:43]                 // 00000001A130: D10000F9 00AA8545
	v_cndmask_b32_e64 v251, v69, v67, s[78:79]                 // 00000001A138: D10000FB 013A8745
	v_mov_b32_dpp v64, v57 row_shr:4 row_mask:0xf bank_mask:0xf// 00000001A140: 7E8002FA FF011439
	v_mov_b32_dpp v65, v57 row_shl:4 row_mask:0xf bank_mask:0xf// 00000001A148: 7E8202FA FF010439
	v_cndmask_b32_e64 v252, v57, v64, s[44:45]                 // 00000001A150: D10000FC 00B28139
	v_cndmask_b32_e64 v253, v65, v57, s[44:45]                 // 00000001A158: D10000FD 00B27341
	v_mov_b32_dpp v64, v252 row_shr:8 row_mask:0xf bank_mask:0xf// 00000001A160: 7E8002FA FF0118FC
	v_mov_b32_dpp v65, v252 row_shl:8 row_mask:0xf bank_mask:0xf// 00000001A168: 7E8202FA FF0108FC
	v_mov_b32_dpp v66, v253 row_shr:8 row_mask:0xf bank_mask:0xf// 00000001A170: 7E8402FA FF0118FD
	v_mov_b32_dpp v67, v253 row_shl:8 row_mask:0xf bank_mask:0xf// 00000001A178: 7E8602FA FF0108FD
	v_mov_b32_e32 v68, v252                                    // 00000001A180: 7E8803FC
	v_mov_b32_e32 v69, v253                                    // 00000001A184: 7E8A03FD
	v_cndmask_b32_e64 v252, v68, v64, s[42:43]                 // 00000001A188: D10000FC 00AA8144
	v_cndmask_b32_e64 v254, v68, v65, s[78:79]                 // 00000001A190: D10000FE 013A8344
	v_cndmask_b32_e64 v253, v69, v66, s[42:43]                 // 00000001A198: D10000FD 00AA8545
	v_cndmask_b32_e64 v255, v69, v67, s[78:79]                 // 00000001A1A0: D10000FF 013A8745
	buffer_load_dword v58, v56, s[36:39], 0 offen              // 00000001A1A8: E0501000 80093A38
	v_mul_f32_e32 v112, v18, v112                              // 00000001A1B0: 0AE0E112
	v_mul_f32_e32 v113, v18, v113                              // 00000001A1B4: 0AE2E312
	v_mul_f32_e32 v114, v18, v114                              // 00000001A1B8: 0AE4E512
	v_mul_f32_e32 v115, v18, v115                              // 00000001A1BC: 0AE6E712
	v_mul_f32_e32 v116, v18, v116                              // 00000001A1C0: 0AE8E912
	v_mul_f32_e32 v117, v18, v117                              // 00000001A1C4: 0AEAEB12
	v_mul_f32_e32 v118, v18, v118                              // 00000001A1C8: 0AECED12
	v_mul_f32_e32 v119, v18, v119                              // 00000001A1CC: 0AEEEF12
	v_mul_f32_e32 v120, v18, v120                              // 00000001A1D0: 0AF0F112
	v_mul_f32_e32 v121, v18, v121                              // 00000001A1D4: 0AF2F312
	v_mul_f32_e32 v122, v18, v122                              // 00000001A1D8: 0AF4F512
	v_mul_f32_e32 v123, v18, v123                              // 00000001A1DC: 0AF6F712
	v_mul_f32_e32 v124, v18, v124                              // 00000001A1E0: 0AF8F912
	v_mul_f32_e32 v125, v18, v125                              // 00000001A1E4: 0AFAFB12
	v_mul_f32_e32 v126, v18, v126                              // 00000001A1E8: 0AFCFD12
	v_mul_f32_e32 v127, v18, v127                              // 00000001A1EC: 0AFEFF12
	buffer_load_dwordx4 a[48:51], v28, s[16:19], 0 offen       // 00000001A1F0: E05C1000 8084301C
	v_mul_f32_dpp v112, v248, v112 quad_perm:[0,0,0,0] row_mask:0xf bank_mask:0xf// 00000001A1F8: 0AE0E0FA FF0000F8
	v_mul_f32_dpp v113, v248, v113 quad_perm:[1,1,1,1] row_mask:0xf bank_mask:0xf// 00000001A200: 0AE2E2FA FF0055F8
	v_mul_f32_dpp v114, v248, v114 quad_perm:[2,2,2,2] row_mask:0xf bank_mask:0xf// 00000001A208: 0AE4E4FA FF00AAF8
	v_mul_f32_dpp v115, v248, v115 quad_perm:[3,3,3,3] row_mask:0xf bank_mask:0xf// 00000001A210: 0AE6E6FA FF00FFF8
	v_mul_f32_dpp v116, v249, v116 quad_perm:[0,0,0,0] row_mask:0xf bank_mask:0xf// 00000001A218: 0AE8E8FA FF0000F9
	v_mul_f32_dpp v117, v249, v117 quad_perm:[1,1,1,1] row_mask:0xf bank_mask:0xf// 00000001A220: 0AEAEAFA FF0055F9
	v_mul_f32_dpp v118, v249, v118 quad_perm:[2,2,2,2] row_mask:0xf bank_mask:0xf// 00000001A228: 0AECECFA FF00AAF9
	v_mul_f32_dpp v119, v249, v119 quad_perm:[3,3,3,3] row_mask:0xf bank_mask:0xf// 00000001A230: 0AEEEEFA FF00FFF9
	v_mul_f32_dpp v120, v250, v120 quad_perm:[0,0,0,0] row_mask:0xf bank_mask:0xf// 00000001A238: 0AF0F0FA FF0000FA
	v_mul_f32_dpp v121, v250, v121 quad_perm:[1,1,1,1] row_mask:0xf bank_mask:0xf// 00000001A240: 0AF2F2FA FF0055FA
	v_mul_f32_dpp v122, v250, v122 quad_perm:[2,2,2,2] row_mask:0xf bank_mask:0xf// 00000001A248: 0AF4F4FA FF00AAFA
	v_mul_f32_dpp v123, v250, v123 quad_perm:[3,3,3,3] row_mask:0xf bank_mask:0xf// 00000001A250: 0AF6F6FA FF00FFFA
	v_mul_f32_dpp v124, v251, v124 quad_perm:[0,0,0,0] row_mask:0xf bank_mask:0xf// 00000001A258: 0AF8F8FA FF0000FB
	v_mul_f32_dpp v125, v251, v125 quad_perm:[1,1,1,1] row_mask:0xf bank_mask:0xf// 00000001A260: 0AFAFAFA FF0055FB
	v_mul_f32_dpp v126, v251, v126 quad_perm:[2,2,2,2] row_mask:0xf bank_mask:0xf// 00000001A268: 0AFCFCFA FF00AAFB
	v_mul_f32_dpp v127, v251, v127 quad_perm:[3,3,3,3] row_mask:0xf bank_mask:0xf// 00000001A270: 0AFEFEFA FF00FFFB
	buffer_load_dwordx4 a[52:55], v28, s[16:19], 0 offen offset:1024// 00000001A278: E05C1400 8084341C
	v_mov_b32_e32 v48, v112                                    // 00000001A280: 7E600370
	v_max3_f32 v48, v112, v113, v48                            // 00000001A284: D1D30030 04C2E370
	v_max3_f32 v48, v114, v115, v48                            // 00000001A28C: D1D30030 04C2E772
	v_max3_f32 v48, v116, v117, v48                            // 00000001A294: D1D30030 04C2EB74
	v_max3_f32 v48, v118, v119, v48                            // 00000001A29C: D1D30030 04C2EF76
	v_max3_f32 v48, v120, v121, v48                            // 00000001A2A4: D1D30030 04C2F378
	v_max3_f32 v48, v122, v123, v48                            // 00000001A2AC: D1D30030 04C2F77A
	v_max3_f32 v48, v124, v125, v48                            // 00000001A2B4: D1D30030 04C2FB7C
	v_max3_f32 v48, v126, v127, v48                            // 00000001A2BC: D1D30030 04C2FF7E
	ds_write_b32 v8, v48 offset:16896                          // 00000001A2C4: D81A4200 00003008
	buffer_load_dwordx4 a[56:59], v29, s[16:19], 0 offen       // 00000001A2CC: E05C1000 8084381D
	v_mul_u32_u24_dpp v64, v17, v54 row_newbcast:1 row_mask:0xf bank_mask:0xf// 00000001A2D4: 10806CFA FF015111
	v_mul_u32_u24_dpp v65, v17, v54 row_newbcast:5 row_mask:0xf bank_mask:0xf// 00000001A2DC: 10826CFA FF015511
	v_mul_u32_u24_dpp v66, v17, v54 row_newbcast:9 row_mask:0xf bank_mask:0xf// 00000001A2E4: 10846CFA FF015911
	v_mul_u32_u24_dpp v67, v17, v54 row_newbcast:13 row_mask:0xf bank_mask:0xf// 00000001A2EC: 10866CFA FF015D11
	v_add_u32_e32 v34, v64, v6                                 // 00000001A2F4: 68440D40
	v_add_u32_e32 v35, v65, v6                                 // 00000001A2F8: 68460D41
	v_add_u32_e32 v36, v66, v6                                 // 00000001A2FC: 68480D42
	v_add_u32_e32 v37, v67, v6                                 // 00000001A300: 684A0D43
	v_mul_f32_e32 v208, v49, v208                              // 00000001A304: 0BA1A131
	v_mul_f32_e32 v209, v49, v209                              // 00000001A308: 0BA3A331
	v_mul_f32_e32 v210, v49, v210                              // 00000001A30C: 0BA5A531
	v_mul_f32_e32 v211, v49, v211                              // 00000001A310: 0BA7A731
	v_mul_f32_e32 v212, v49, v212                              // 00000001A314: 0BA9A931
	v_mul_f32_e32 v213, v49, v213                              // 00000001A318: 0BABAB31
	v_mul_f32_e32 v214, v49, v214                              // 00000001A31C: 0BADAD31
	v_mul_f32_e32 v215, v49, v215                              // 00000001A320: 0BAFAF31
	s_waitcnt lgkmcnt(0)                                       // 00000001A324: BF8CC07F
	s_barrier                                                  // 00000001A328: BF8A0000
	ds_read_b32 v64, v7 offset:16896                           // 00000001A32C: D86C4200 40000007
	ds_read_b32 v65, v7 offset:16960                           // 00000001A334: D86C4240 41000007
	ds_read_b32 v66, v7 offset:17024                           // 00000001A33C: D86C4280 42000007
	ds_read_b32 v67, v7 offset:17088                           // 00000001A344: D86C42C0 43000007
	ds_read_b32 v68, v7 offset:17152                           // 00000001A34C: D86C4300 44000007
	ds_read_b32 v69, v7 offset:17216                           // 00000001A354: D86C4340 45000007
	ds_read_b32 v70, v7 offset:17280                           // 00000001A35C: D86C4380 46000007
	ds_read_b32 v71, v7 offset:17344                           // 00000001A364: D86C43C0 47000007
	ds_read_b32 v72, v7 offset:17408                           // 00000001A36C: D86C4400 48000007
	ds_read_b32 v73, v7 offset:17472                           // 00000001A374: D86C4440 49000007
	ds_read_b32 v74, v7 offset:17536                           // 00000001A37C: D86C4480 4A000007
	ds_read_b32 v75, v7 offset:17600                           // 00000001A384: D86C44C0 4B000007
	ds_read_b32 v76, v7 offset:17664                           // 00000001A38C: D86C4500 4C000007
	ds_read_b32 v77, v7 offset:17728                           // 00000001A394: D86C4540 4D000007
	ds_read_b32 v78, v7 offset:17792                           // 00000001A39C: D86C4580 4E000007
	ds_read_b32 v79, v7 offset:17856                           // 00000001A3A4: D86C45C0 4F000007
	buffer_load_dwordx4 a[60:63], v29, s[16:19], 0 offen offset:1024// 00000001A3AC: E05C1400 80843C1D
	v_mul_f32_e32 v176, v44, v176                              // 00000001A3B4: 0B61612C
	v_mul_f32_e32 v177, v44, v177                              // 00000001A3B8: 0B63632C
	v_mul_f32_e32 v178, v44, v178                              // 00000001A3BC: 0B65652C
	v_mul_f32_e32 v179, v44, v179                              // 00000001A3C0: 0B67672C
	v_mul_f32_e32 v180, v44, v180                              // 00000001A3C4: 0B69692C
	v_mul_f32_e32 v181, v44, v181                              // 00000001A3C8: 0B6B6B2C
	v_mul_f32_e32 v182, v44, v182                              // 00000001A3CC: 0B6D6D2C
	v_mul_f32_e32 v183, v44, v183                              // 00000001A3D0: 0B6F6F2C
	s_waitcnt lgkmcnt(0)                                       // 00000001A3D4: BF8CC07F
	v_max3_f32 v48, v64, v65, v48                              // 00000001A3D8: D1D30030 04C28340
	v_max3_f32 v48, v66, v67, v48                              // 00000001A3E0: D1D30030 04C28742
	v_max3_f32 v48, v68, v69, v48                              // 00000001A3E8: D1D30030 04C28B44
	v_max3_f32 v48, v70, v71, v48                              // 00000001A3F0: D1D30030 04C28F46
	v_max3_f32 v48, v72, v73, v48                              // 00000001A3F8: D1D30030 04C29348
	v_max3_f32 v48, v74, v75, v48                              // 00000001A400: D1D30030 04C2974A
	v_max3_f32 v48, v76, v77, v48                              // 00000001A408: D1D30030 04C29B4C
	v_max3_f32 v48, v78, v79, v48                              // 00000001A410: D1D30030 04C29F4E
	buffer_load_dwordx4 a[96:99], v34, s[20:23], 0 offen       // 00000001A418: E05C1000 80856022
	v_mov_b32_e32 v64, 0xff800000                              // 00000001A420: 7E8002FF FF800000
	v_cmp_eq_u32_e64 s[40:41], v64, v11                        // 00000001A428: D0CA0028 00021740
	s_nop 1                                                    // 00000001A430: BF800001
	v_max_f32_e32 v15, v48, v11                                // 00000001A434: 161E1730
	v_mul_f32_e32 v53, s64, v15                                // 00000001A438: 0A6A1E40
	v_fma_f32 v112, v112, s64, -v53                            // 00000001A43C: D1CB0070 84D48170
	v_fma_f32 v113, v113, s64, -v53                            // 00000001A444: D1CB0071 84D48171
	v_fma_f32 v114, v114, s64, -v53                            // 00000001A44C: D1CB0072 84D48172
	v_fma_f32 v115, v115, s64, -v53                            // 00000001A454: D1CB0073 84D48173
	v_fma_f32 v116, v116, s64, -v53                            // 00000001A45C: D1CB0074 84D48174
	v_fma_f32 v117, v117, s64, -v53                            // 00000001A464: D1CB0075 84D48175
	v_fma_f32 v118, v118, s64, -v53                            // 00000001A46C: D1CB0076 84D48176
	v_fma_f32 v119, v119, s64, -v53                            // 00000001A474: D1CB0077 84D48177
	v_fma_f32 v120, v120, s64, -v53                            // 00000001A47C: D1CB0078 84D48178
	v_fma_f32 v121, v121, s64, -v53                            // 00000001A484: D1CB0079 84D48179
	v_fma_f32 v122, v122, s64, -v53                            // 00000001A48C: D1CB007A 84D4817A
	v_fma_f32 v123, v123, s64, -v53                            // 00000001A494: D1CB007B 84D4817B
	v_fma_f32 v124, v124, s64, -v53                            // 00000001A49C: D1CB007C 84D4817C
	v_fma_f32 v125, v125, s64, -v53                            // 00000001A4A4: D1CB007D 84D4817D
	v_fma_f32 v126, v126, s64, -v53                            // 00000001A4AC: D1CB007E 84D4817E
	v_fma_f32 v127, v127, s64, -v53                            // 00000001A4B4: D1CB007F 84D4817F
	buffer_load_dwordx4 a[100:103], v35, s[20:23], 0 offen     // 00000001A4BC: E05C1000 80856423
	v_exp_f32_e32 v112, v112                                   // 00000001A4C4: 7EE04170
	v_exp_f32_e32 v113, v113                                   // 00000001A4C8: 7EE24171
	v_exp_f32_e32 v114, v114                                   // 00000001A4CC: 7EE44172
	v_exp_f32_e32 v115, v115                                   // 00000001A4D0: 7EE64173
	v_exp_f32_e32 v116, v116                                   // 00000001A4D4: 7EE84174
	v_exp_f32_e32 v117, v117                                   // 00000001A4D8: 7EEA4175
	v_exp_f32_e32 v118, v118                                   // 00000001A4DC: 7EEC4176
	v_exp_f32_e32 v119, v119                                   // 00000001A4E0: 7EEE4177
	v_exp_f32_e32 v120, v120                                   // 00000001A4E4: 7EF04178
	v_exp_f32_e32 v121, v121                                   // 00000001A4E8: 7EF24179
	v_exp_f32_e32 v122, v122                                   // 00000001A4EC: 7EF4417A
	v_exp_f32_e32 v123, v123                                   // 00000001A4F0: 7EF6417B
	v_exp_f32_e32 v124, v124                                   // 00000001A4F4: 7EF8417C
	v_exp_f32_e32 v125, v125                                   // 00000001A4F8: 7EFA417D
	v_exp_f32_e32 v126, v126                                   // 00000001A4FC: 7EFC417E
	v_exp_f32_e32 v127, v127                                   // 00000001A500: 7EFE417F
	buffer_load_dwordx4 a[104:107], v36, s[20:23], 0 offen     // 00000001A504: E05C1000 80856824
	v_mul_f32_dpp v240, v252, v112 quad_perm:[0,0,0,0] row_mask:0xf bank_mask:0xf// 00000001A50C: 0BE0E0FA FF0000FC
	v_mul_f32_dpp v241, v252, v113 quad_perm:[1,1,1,1] row_mask:0xf bank_mask:0xf// 00000001A514: 0BE2E2FA FF0055FC
	v_mul_f32_dpp v242, v252, v114 quad_perm:[2,2,2,2] row_mask:0xf bank_mask:0xf// 00000001A51C: 0BE4E4FA FF00AAFC
	v_mul_f32_dpp v243, v252, v115 quad_perm:[3,3,3,3] row_mask:0xf bank_mask:0xf// 00000001A524: 0BE6E6FA FF00FFFC
	v_mul_f32_dpp v244, v253, v116 quad_perm:[0,0,0,0] row_mask:0xf bank_mask:0xf// 00000001A52C: 0BE8E8FA FF0000FD
	v_mul_f32_dpp v245, v253, v117 quad_perm:[1,1,1,1] row_mask:0xf bank_mask:0xf// 00000001A534: 0BEAEAFA FF0055FD
	v_mul_f32_dpp v246, v253, v118 quad_perm:[2,2,2,2] row_mask:0xf bank_mask:0xf// 00000001A53C: 0BECECFA FF00AAFD
	v_mul_f32_dpp v247, v253, v119 quad_perm:[3,3,3,3] row_mask:0xf bank_mask:0xf// 00000001A544: 0BEEEEFA FF00FFFD
	v_mul_f32_dpp v248, v254, v120 quad_perm:[0,0,0,0] row_mask:0xf bank_mask:0xf// 00000001A54C: 0BF0F0FA FF0000FE
	v_mul_f32_dpp v249, v254, v121 quad_perm:[1,1,1,1] row_mask:0xf bank_mask:0xf// 00000001A554: 0BF2F2FA FF0055FE
	v_mul_f32_dpp v250, v254, v122 quad_perm:[2,2,2,2] row_mask:0xf bank_mask:0xf// 00000001A55C: 0BF4F4FA FF00AAFE
	v_mul_f32_dpp v251, v254, v123 quad_perm:[3,3,3,3] row_mask:0xf bank_mask:0xf// 00000001A564: 0BF6F6FA FF00FFFE
	v_mul_f32_dpp v252, v255, v124 quad_perm:[0,0,0,0] row_mask:0xf bank_mask:0xf// 00000001A56C: 0BF8F8FA FF0000FF
	v_mul_f32_dpp v253, v255, v125 quad_perm:[1,1,1,1] row_mask:0xf bank_mask:0xf// 00000001A574: 0BFAFAFA FF0055FF
	v_mul_f32_dpp v254, v255, v126 quad_perm:[2,2,2,2] row_mask:0xf bank_mask:0xf// 00000001A57C: 0BFCFCFA FF00AAFF
	v_mul_f32_dpp v255, v255, v127 quad_perm:[3,3,3,3] row_mask:0xf bank_mask:0xf// 00000001A584: 0BFEFEFA FF00FFFF
	v_mov_b32_e32 v48, 0x358637bd                              // 00000001A58C: 7E6002FF 358637BD
	v_max3_f32 v48, |v240|, |v241|, v48                        // 00000001A594: D1D30330 04C3E3F0
	v_max3_f32 v48, |v242|, |v243|, v48                        // 00000001A59C: D1D30330 04C3E7F2
	v_max3_f32 v48, |v244|, |v245|, v48                        // 00000001A5A4: D1D30330 04C3EBF4
	v_max3_f32 v48, |v246|, |v247|, v48                        // 00000001A5AC: D1D30330 04C3EFF6
	v_max3_f32 v48, |v248|, |v249|, v48                        // 00000001A5B4: D1D30330 04C3F3F8
	v_max3_f32 v48, |v250|, |v251|, v48                        // 00000001A5BC: D1D30330 04C3F7FA
	v_max3_f32 v48, |v252|, |v253|, v48                        // 00000001A5C4: D1D30330 04C3FBFC
	v_max3_f32 v48, |v254|, |v255|, v48                        // 00000001A5CC: D1D30330 04C3FFFE
	buffer_load_dwordx4 a[108:111], v37, s[20:23], 0 offen     // 00000001A5D4: E05C1000 80856C25
	ds_write_b32 v8, v48 offset:20992                          // 00000001A5DC: D81A5200 00003008
	v_sub_f32_e32 v49, v11, v15                                // 00000001A5E4: 04621F0B
	v_cndmask_b32_e64 v49, v49, 0, s[40:41]                    // 00000001A5E8: D1000031 00A10131
	v_mov_b32_e32 v11, v15                                     // 00000001A5F0: 7E16030F
	v_mul_f32_e32 v49, s64, v49                                // 00000001A5F4: 0A626240
	v_exp_f32_e32 v49, v49                                     // 00000001A5F8: 7E624131
	s_waitcnt lgkmcnt(0)                                       // 00000001A5FC: BF8CC07F
	s_barrier                                                  // 00000001A600: BF8A0000
	ds_read_b32 v64, v7 offset:20992                           // 00000001A604: D86C5200 40000007
	ds_read_b32 v65, v7 offset:21056                           // 00000001A60C: D86C5240 41000007
	ds_read_b32 v66, v7 offset:21120                           // 00000001A614: D86C5280 42000007
	ds_read_b32 v67, v7 offset:21184                           // 00000001A61C: D86C52C0 43000007
	ds_read_b32 v68, v7 offset:21248                           // 00000001A624: D86C5300 44000007
	ds_read_b32 v69, v7 offset:21312                           // 00000001A62C: D86C5340 45000007
	ds_read_b32 v70, v7 offset:21376                           // 00000001A634: D86C5380 46000007
	ds_read_b32 v71, v7 offset:21440                           // 00000001A63C: D86C53C0 47000007
	ds_read_b32 v72, v7 offset:21504                           // 00000001A644: D86C5400 48000007
	ds_read_b32 v73, v7 offset:21568                           // 00000001A64C: D86C5440 49000007
	ds_read_b32 v74, v7 offset:21632                           // 00000001A654: D86C5480 4A000007
	ds_read_b32 v75, v7 offset:21696                           // 00000001A65C: D86C54C0 4B000007
	ds_read_b32 v76, v7 offset:21760                           // 00000001A664: D86C5500 4C000007
	ds_read_b32 v77, v7 offset:21824                           // 00000001A66C: D86C5540 4D000007
	ds_read_b32 v78, v7 offset:21888                           // 00000001A674: D86C5580 4E000007
	ds_read_b32 v79, v7 offset:21952                           // 00000001A67C: D86C55C0 4F000007
	v_mul_f32_e32 v38, v49, v38                                // 00000001A684: 0A4C4D31
	v_mov_b32_e32 v15, v112                                    // 00000001A688: 7E1E0370
	v_add_f32_e32 v15, v113, v15                               // 00000001A68C: 021E1F71
	v_add_f32_e32 v15, v114, v15                               // 00000001A690: 021E1F72
	v_add_f32_e32 v15, v115, v15                               // 00000001A694: 021E1F73
	v_add_f32_e32 v15, v116, v15                               // 00000001A698: 021E1F74
	v_add_f32_e32 v15, v117, v15                               // 00000001A69C: 021E1F75
	v_add_f32_e32 v15, v118, v15                               // 00000001A6A0: 021E1F76
	v_add_f32_e32 v15, v119, v15                               // 00000001A6A4: 021E1F77
	v_add_f32_e32 v15, v120, v15                               // 00000001A6A8: 021E1F78
	v_add_f32_e32 v15, v121, v15                               // 00000001A6AC: 021E1F79
	v_add_f32_e32 v15, v122, v15                               // 00000001A6B0: 021E1F7A
	v_add_f32_e32 v15, v123, v15                               // 00000001A6B4: 021E1F7B
	v_add_f32_e32 v15, v124, v15                               // 00000001A6B8: 021E1F7C
	v_add_f32_e32 v15, v125, v15                               // 00000001A6BC: 021E1F7D
	v_add_f32_e32 v15, v126, v15                               // 00000001A6C0: 021E1F7E
	v_add_f32_e32 v15, v127, v15                               // 00000001A6C4: 021E1F7F
	v_add_f32_e32 v38, v15, v38                                // 00000001A6C8: 024C4D0F
	s_waitcnt lgkmcnt(0)                                       // 00000001A6CC: BF8CC07F
	v_max3_f32 v48, |v64|, |v65|, v48                          // 00000001A6D0: D1D30330 04C28340
	v_max3_f32 v48, |v66|, |v67|, v48                          // 00000001A6D8: D1D30330 04C28742
	v_max3_f32 v48, |v68|, |v69|, v48                          // 00000001A6E0: D1D30330 04C28B44
	v_max3_f32 v48, |v70|, |v71|, v48                          // 00000001A6E8: D1D30330 04C28F46
	v_max3_f32 v48, |v72|, |v73|, v48                          // 00000001A6F0: D1D30330 04C29348
	v_max3_f32 v48, |v74|, |v75|, v48                          // 00000001A6F8: D1D30330 04C2974A
	v_max3_f32 v48, |v76|, |v77|, v48                          // 00000001A700: D1D30330 04C29B4C
	v_max3_f32 v48, |v78|, |v79|, v48                          // 00000001A708: D1D30330 04C29F4E
	s_nop 2                                                    // 00000001A710: BF800002
	v_rcp_f32_e32 v48, v48                                     // 00000001A714: 7E604530
	s_nop 1                                                    // 00000001A718: BF800001
	v_mul_f32_e32 v48, 0x43e00000, v48                         // 00000001A71C: 0A6060FF 43E00000
	v_mul_f32_e32 v112, v48, v240                              // 00000001A724: 0AE1E130
	v_mul_f32_e32 v113, v48, v241                              // 00000001A728: 0AE3E330
	v_mul_f32_e32 v114, v48, v242                              // 00000001A72C: 0AE5E530
	v_mul_f32_e32 v115, v48, v243                              // 00000001A730: 0AE7E730
	v_mul_f32_e32 v116, v48, v244                              // 00000001A734: 0AE9E930
	v_mul_f32_e32 v117, v48, v245                              // 00000001A738: 0AEBEB30
	v_mul_f32_e32 v118, v48, v246                              // 00000001A73C: 0AEDED30
	v_mul_f32_e32 v119, v48, v247                              // 00000001A740: 0AEFEF30
	v_mul_f32_e32 v120, v48, v248                              // 00000001A744: 0AF1F130
	v_mul_f32_e32 v121, v48, v249                              // 00000001A748: 0AF3F330
	v_mul_f32_e32 v122, v48, v250                              // 00000001A74C: 0AF5F530
	v_mul_f32_e32 v123, v48, v251                              // 00000001A750: 0AF7F730
	v_mul_f32_e32 v124, v48, v252                              // 00000001A754: 0AF9F930
	v_mul_f32_e32 v125, v48, v253                              // 00000001A758: 0AFBFB30
	v_mul_f32_e32 v126, v48, v254                              // 00000001A75C: 0AFDFD30
	v_mul_f32_e32 v127, v48, v255                              // 00000001A760: 0AFFFF30
	v_cvt_pk_fp8_f32 v112, v112, v113                          // 00000001A764: D2A20070 0002E370
	v_cvt_pk_fp8_f32 v112, v114, v115 op_sel:[0,0,1]           // 00000001A76C: D2A24070 0002E772
	v_cvt_pk_fp8_f32 v113, v116, v117                          // 00000001A774: D2A20071 0002EB74
	v_cvt_pk_fp8_f32 v113, v118, v119 op_sel:[0,0,1]           // 00000001A77C: D2A24071 0002EF76
	v_cvt_pk_fp8_f32 v114, v120, v121                          // 00000001A784: D2A20072 0002F378
	v_cvt_pk_fp8_f32 v114, v122, v123 op_sel:[0,0,1]           // 00000001A78C: D2A24072 0002F77A
	v_cvt_pk_fp8_f32 v115, v124, v125                          // 00000001A794: D2A20073 0002FB7C
	v_cvt_pk_fp8_f32 v115, v126, v127 op_sel:[0,0,1]           // 00000001A79C: D2A24073 0002FF7E
	ds_write_b32 v10, v112 offset:25088                        // 00000001A7A4: D81A6200 0000700A
	ds_write_b32 v10, v113 offset:26112                        // 00000001A7AC: D81A6600 0000710A
	ds_write_b32 v10, v114 offset:27136                        // 00000001A7B4: D81A6A00 0000720A
	ds_write_b32 v10, v115 offset:28160                        // 00000001A7BC: D81A6E00 0000730A
	v_add_f32_e32 v208, v208, v176                             // 00000001A7C4: 03A161D0
	v_add_f32_e32 v209, v209, v177                             // 00000001A7C8: 03A363D1
	v_add_f32_e32 v210, v210, v178                             // 00000001A7CC: 03A565D2
	v_add_f32_e32 v211, v211, v179                             // 00000001A7D0: 03A767D3
	v_add_f32_e32 v212, v212, v180                             // 00000001A7D4: 03A969D4
	v_add_f32_e32 v213, v213, v181                             // 00000001A7D8: 03AB6BD5
	v_add_f32_e32 v214, v214, v182                             // 00000001A7DC: 03AD6DD6
	v_add_f32_e32 v215, v215, v183                             // 00000001A7E0: 03AF6FD7
	v_rcp_f32_e32 v44, v48                                     // 00000001A7E4: 7E584530
	s_waitcnt lgkmcnt(0)                                       // 00000001A7E8: BF8CC07F
	s_barrier                                                  // 00000001A7EC: BF8A0000
	ds_read_b64 v[112:113], v9 offset:25088                    // 00000001A7F0: D8EC6200 70000009
	ds_read_b64 v[114:115], v9 offset:25216                    // 00000001A7F8: D8EC6280 72000009
	ds_read_b64 v[116:117], v9 offset:26112                    // 00000001A800: D8EC6600 74000009
	ds_read_b64 v[118:119], v9 offset:26240                    // 00000001A808: D8EC6680 76000009
	ds_read_b64 v[120:121], v9 offset:27136                    // 00000001A810: D8EC6A00 78000009
	ds_read_b64 v[122:123], v9 offset:27264                    // 00000001A818: D8EC6A80 7A000009
	ds_read_b64 v[124:125], v9 offset:28160                    // 00000001A820: D8EC6E00 7C000009
	ds_read_b64 v[126:127], v9 offset:28288                    // 00000001A828: D8EC6E80 7E000009
	v_mov_b32_dpp v64, v42 row_shr:4 row_mask:0xf bank_mask:0xf// 00000001A830: 7E8002FA FF01142A
	v_mov_b32_dpp v65, v42 row_shl:4 row_mask:0xf bank_mask:0xf// 00000001A838: 7E8202FA FF01042A
	v_cndmask_b32_e64 v248, v42, v64, s[44:45]                 // 00000001A840: D10000F8 00B2812A
	v_cndmask_b32_e64 v249, v65, v42, s[44:45]                 // 00000001A848: D10000F9 00B25541
	v_mov_b32_dpp v64, v248 row_shr:8 row_mask:0xf bank_mask:0xf// 00000001A850: 7E8002FA FF0118F8
	v_mov_b32_dpp v65, v248 row_shl:8 row_mask:0xf bank_mask:0xf// 00000001A858: 7E8202FA FF0108F8
	v_mov_b32_dpp v66, v249 row_shr:8 row_mask:0xf bank_mask:0xf// 00000001A860: 7E8402FA FF0118F9
	v_mov_b32_dpp v67, v249 row_shl:8 row_mask:0xf bank_mask:0xf// 00000001A868: 7E8602FA FF0108F9
	v_mov_b32_e32 v68, v248                                    // 00000001A870: 7E8803F8
	v_mov_b32_e32 v69, v249                                    // 00000001A874: 7E8A03F9
	v_cndmask_b32_e64 v248, v68, v64, s[42:43]                 // 00000001A878: D10000F8 00AA8144
	v_cndmask_b32_e64 v250, v68, v65, s[78:79]                 // 00000001A880: D10000FA 013A8344
	v_cndmask_b32_e64 v249, v69, v66, s[42:43]                 // 00000001A888: D10000F9 00AA8545
	v_cndmask_b32_e64 v251, v69, v67, s[78:79]                 // 00000001A890: D10000FB 013A8745
	v_mov_b32_dpp v64, v57 row_shr:4 row_mask:0xf bank_mask:0xf// 00000001A898: 7E8002FA FF011439
	v_mov_b32_dpp v65, v57 row_shl:4 row_mask:0xf bank_mask:0xf// 00000001A8A0: 7E8202FA FF010439
	v_cndmask_b32_e64 v252, v57, v64, s[44:45]                 // 00000001A8A8: D10000FC 00B28139
	v_cndmask_b32_e64 v253, v65, v57, s[44:45]                 // 00000001A8B0: D10000FD 00B27341
	v_mov_b32_dpp v64, v252 row_shr:8 row_mask:0xf bank_mask:0xf// 00000001A8B8: 7E8002FA FF0118FC
	v_mov_b32_dpp v65, v252 row_shl:8 row_mask:0xf bank_mask:0xf// 00000001A8C0: 7E8202FA FF0108FC
	v_mov_b32_dpp v66, v253 row_shr:8 row_mask:0xf bank_mask:0xf// 00000001A8C8: 7E8402FA FF0118FD
	v_mov_b32_dpp v67, v253 row_shl:8 row_mask:0xf bank_mask:0xf// 00000001A8D0: 7E8602FA FF0108FD
	v_mov_b32_e32 v68, v252                                    // 00000001A8D8: 7E8803FC
	v_mov_b32_e32 v69, v253                                    // 00000001A8DC: 7E8A03FD
	v_cndmask_b32_e64 v252, v68, v64, s[42:43]                 // 00000001A8E0: D10000FC 00AA8144
	v_cndmask_b32_e64 v254, v68, v65, s[78:79]                 // 00000001A8E8: D10000FE 013A8344
	v_cndmask_b32_e64 v253, v69, v66, s[42:43]                 // 00000001A8F0: D10000FD 00AA8545
	v_cndmask_b32_e64 v255, v69, v67, s[78:79]                 // 00000001A8F8: D10000FF 013A8745
	v_mul_f32_e32 v128, v19, v128                              // 00000001A900: 0B010113
	v_mul_f32_e32 v129, v19, v129                              // 00000001A904: 0B030313
	v_mul_f32_e32 v130, v19, v130                              // 00000001A908: 0B050513
	v_mul_f32_e32 v131, v19, v131                              // 00000001A90C: 0B070713
	v_mul_f32_e32 v132, v19, v132                              // 00000001A910: 0B090913
	v_mul_f32_e32 v133, v19, v133                              // 00000001A914: 0B0B0B13
	v_mul_f32_e32 v134, v19, v134                              // 00000001A918: 0B0D0D13
	v_mul_f32_e32 v135, v19, v135                              // 00000001A91C: 0B0F0F13
	v_mul_f32_e32 v136, v19, v136                              // 00000001A920: 0B111113
	v_mul_f32_e32 v137, v19, v137                              // 00000001A924: 0B131313
	v_mul_f32_e32 v138, v19, v138                              // 00000001A928: 0B151513
	v_mul_f32_e32 v139, v19, v139                              // 00000001A92C: 0B171713
	v_mul_f32_e32 v140, v19, v140                              // 00000001A930: 0B191913
	v_mul_f32_e32 v141, v19, v141                              // 00000001A934: 0B1B1B13
	v_mul_f32_e32 v142, v19, v142                              // 00000001A938: 0B1D1D13
	v_mul_f32_e32 v143, v19, v143                              // 00000001A93C: 0B1F1F13
	v_mul_f32_dpp v128, v248, v128 quad_perm:[0,0,0,0] row_mask:0xf bank_mask:0xf// 00000001A940: 0B0100FA FF0000F8
	v_mul_f32_dpp v129, v248, v129 quad_perm:[1,1,1,1] row_mask:0xf bank_mask:0xf// 00000001A948: 0B0302FA FF0055F8
	v_mul_f32_dpp v130, v248, v130 quad_perm:[2,2,2,2] row_mask:0xf bank_mask:0xf// 00000001A950: 0B0504FA FF00AAF8
	v_mul_f32_dpp v131, v248, v131 quad_perm:[3,3,3,3] row_mask:0xf bank_mask:0xf// 00000001A958: 0B0706FA FF00FFF8
	v_mul_f32_dpp v132, v249, v132 quad_perm:[0,0,0,0] row_mask:0xf bank_mask:0xf// 00000001A960: 0B0908FA FF0000F9
	v_mul_f32_dpp v133, v249, v133 quad_perm:[1,1,1,1] row_mask:0xf bank_mask:0xf// 00000001A968: 0B0B0AFA FF0055F9
	v_mul_f32_dpp v134, v249, v134 quad_perm:[2,2,2,2] row_mask:0xf bank_mask:0xf// 00000001A970: 0B0D0CFA FF00AAF9
	v_mul_f32_dpp v135, v249, v135 quad_perm:[3,3,3,3] row_mask:0xf bank_mask:0xf// 00000001A978: 0B0F0EFA FF00FFF9
	v_mul_f32_dpp v136, v250, v136 quad_perm:[0,0,0,0] row_mask:0xf bank_mask:0xf// 00000001A980: 0B1110FA FF0000FA
	v_mul_f32_dpp v137, v250, v137 quad_perm:[1,1,1,1] row_mask:0xf bank_mask:0xf// 00000001A988: 0B1312FA FF0055FA
	v_mul_f32_dpp v138, v250, v138 quad_perm:[2,2,2,2] row_mask:0xf bank_mask:0xf// 00000001A990: 0B1514FA FF00AAFA
	v_mul_f32_dpp v139, v250, v139 quad_perm:[3,3,3,3] row_mask:0xf bank_mask:0xf// 00000001A998: 0B1716FA FF00FFFA
	v_mul_f32_dpp v140, v251, v140 quad_perm:[0,0,0,0] row_mask:0xf bank_mask:0xf// 00000001A9A0: 0B1918FA FF0000FB
	v_mul_f32_dpp v141, v251, v141 quad_perm:[1,1,1,1] row_mask:0xf bank_mask:0xf// 00000001A9A8: 0B1B1AFA FF0055FB
	v_mul_f32_dpp v142, v251, v142 quad_perm:[2,2,2,2] row_mask:0xf bank_mask:0xf// 00000001A9B0: 0B1D1CFA FF00AAFB
	v_mul_f32_dpp v143, v251, v143 quad_perm:[3,3,3,3] row_mask:0xf bank_mask:0xf// 00000001A9B8: 0B1F1EFA FF00FFFB
	v_mov_b32_e32 v48, v128                                    // 00000001A9C0: 7E600380
	v_max3_f32 v48, v128, v129, v48                            // 00000001A9C4: D1D30030 04C30380
	v_max3_f32 v48, v130, v131, v48                            // 00000001A9CC: D1D30030 04C30782
	v_max3_f32 v48, v132, v133, v48                            // 00000001A9D4: D1D30030 04C30B84
	v_max3_f32 v48, v134, v135, v48                            // 00000001A9DC: D1D30030 04C30F86
	v_max3_f32 v48, v136, v137, v48                            // 00000001A9E4: D1D30030 04C31388
	v_max3_f32 v48, v138, v139, v48                            // 00000001A9EC: D1D30030 04C3178A
	v_max3_f32 v48, v140, v141, v48                            // 00000001A9F4: D1D30030 04C31B8C
	v_max3_f32 v48, v142, v143, v48                            // 00000001A9FC: D1D30030 04C31F8E
	ds_write_b32 v8, v48 offset:16896                          // 00000001AA04: D81A4200 00003008
	v_mul_f32_e32 v216, v50, v216                              // 00000001AA0C: 0BB1B132
	v_mul_f32_e32 v217, v50, v217                              // 00000001AA10: 0BB3B332
	v_mul_f32_e32 v218, v50, v218                              // 00000001AA14: 0BB5B532
	v_mul_f32_e32 v219, v50, v219                              // 00000001AA18: 0BB7B732
	v_mul_f32_e32 v220, v50, v220                              // 00000001AA1C: 0BB9B932
	v_mul_f32_e32 v221, v50, v221                              // 00000001AA20: 0BBBBB32
	v_mul_f32_e32 v222, v50, v222                              // 00000001AA24: 0BBDBD32
	v_mul_f32_e32 v223, v50, v223                              // 00000001AA28: 0BBFBF32
	s_waitcnt lgkmcnt(0)                                       // 00000001AA2C: BF8CC07F
	s_barrier                                                  // 00000001AA30: BF8A0000
	ds_read_b32 v64, v7 offset:16896                           // 00000001AA34: D86C4200 40000007
	ds_read_b32 v65, v7 offset:16960                           // 00000001AA3C: D86C4240 41000007
	ds_read_b32 v66, v7 offset:17024                           // 00000001AA44: D86C4280 42000007
	ds_read_b32 v67, v7 offset:17088                           // 00000001AA4C: D86C42C0 43000007
	ds_read_b32 v68, v7 offset:17152                           // 00000001AA54: D86C4300 44000007
	ds_read_b32 v69, v7 offset:17216                           // 00000001AA5C: D86C4340 45000007
	ds_read_b32 v70, v7 offset:17280                           // 00000001AA64: D86C4380 46000007
	ds_read_b32 v71, v7 offset:17344                           // 00000001AA6C: D86C43C0 47000007
	ds_read_b32 v72, v7 offset:17408                           // 00000001AA74: D86C4400 48000007
	ds_read_b32 v73, v7 offset:17472                           // 00000001AA7C: D86C4440 49000007
	ds_read_b32 v74, v7 offset:17536                           // 00000001AA84: D86C4480 4A000007
	ds_read_b32 v75, v7 offset:17600                           // 00000001AA8C: D86C44C0 4B000007
	ds_read_b32 v76, v7 offset:17664                           // 00000001AA94: D86C4500 4C000007
	ds_read_b32 v77, v7 offset:17728                           // 00000001AA9C: D86C4540 4D000007
	ds_read_b32 v78, v7 offset:17792                           // 00000001AAA4: D86C4580 4E000007
	ds_read_b32 v79, v7 offset:17856                           // 00000001AAAC: D86C45C0 4F000007
	v_mul_f32_e32 v184, v45, v184                              // 00000001AAB4: 0B71712D
	v_mul_f32_e32 v185, v45, v185                              // 00000001AAB8: 0B73732D
	v_mul_f32_e32 v186, v45, v186                              // 00000001AABC: 0B75752D
	v_mul_f32_e32 v187, v45, v187                              // 00000001AAC0: 0B77772D
	v_mul_f32_e32 v188, v45, v188                              // 00000001AAC4: 0B79792D
	v_mul_f32_e32 v189, v45, v189                              // 00000001AAC8: 0B7B7B2D
	v_mul_f32_e32 v190, v45, v190                              // 00000001AACC: 0B7D7D2D
	v_mul_f32_e32 v191, v45, v191                              // 00000001AAD0: 0B7F7F2D
	s_waitcnt lgkmcnt(0)                                       // 00000001AAD4: BF8CC07F
	v_max3_f32 v48, v64, v65, v48                              // 00000001AAD8: D1D30030 04C28340
	v_max3_f32 v48, v66, v67, v48                              // 00000001AAE0: D1D30030 04C28742
	v_max3_f32 v48, v68, v69, v48                              // 00000001AAE8: D1D30030 04C28B44
	v_max3_f32 v48, v70, v71, v48                              // 00000001AAF0: D1D30030 04C28F46
	v_max3_f32 v48, v72, v73, v48                              // 00000001AAF8: D1D30030 04C29348
	v_max3_f32 v48, v74, v75, v48                              // 00000001AB00: D1D30030 04C2974A
	v_max3_f32 v48, v76, v77, v48                              // 00000001AB08: D1D30030 04C29B4C
	v_max3_f32 v48, v78, v79, v48                              // 00000001AB10: D1D30030 04C29F4E
	v_mov_b32_e32 v64, 0xff800000                              // 00000001AB18: 7E8002FF FF800000
	v_cmp_eq_u32_e64 s[40:41], v64, v12                        // 00000001AB20: D0CA0028 00021940
	s_nop 1                                                    // 00000001AB28: BF800001
	v_max_f32_e32 v15, v48, v12                                // 00000001AB2C: 161E1930
	v_mul_f32_e32 v53, s64, v15                                // 00000001AB30: 0A6A1E40
	v_fma_f32 v128, v128, s64, -v53                            // 00000001AB34: D1CB0080 84D48180
	v_fma_f32 v129, v129, s64, -v53                            // 00000001AB3C: D1CB0081 84D48181
	v_fma_f32 v130, v130, s64, -v53                            // 00000001AB44: D1CB0082 84D48182
	v_fma_f32 v131, v131, s64, -v53                            // 00000001AB4C: D1CB0083 84D48183
	v_fma_f32 v132, v132, s64, -v53                            // 00000001AB54: D1CB0084 84D48184
	v_fma_f32 v133, v133, s64, -v53                            // 00000001AB5C: D1CB0085 84D48185
	v_fma_f32 v134, v134, s64, -v53                            // 00000001AB64: D1CB0086 84D48186
	v_fma_f32 v135, v135, s64, -v53                            // 00000001AB6C: D1CB0087 84D48187
	v_fma_f32 v136, v136, s64, -v53                            // 00000001AB74: D1CB0088 84D48188
	v_fma_f32 v137, v137, s64, -v53                            // 00000001AB7C: D1CB0089 84D48189
	v_fma_f32 v138, v138, s64, -v53                            // 00000001AB84: D1CB008A 84D4818A
	v_fma_f32 v139, v139, s64, -v53                            // 00000001AB8C: D1CB008B 84D4818B
	v_fma_f32 v140, v140, s64, -v53                            // 00000001AB94: D1CB008C 84D4818C
	v_fma_f32 v141, v141, s64, -v53                            // 00000001AB9C: D1CB008D 84D4818D
	v_fma_f32 v142, v142, s64, -v53                            // 00000001ABA4: D1CB008E 84D4818E
	v_fma_f32 v143, v143, s64, -v53                            // 00000001ABAC: D1CB008F 84D4818F
	v_exp_f32_e32 v128, v128                                   // 00000001ABB4: 7F004180
	v_exp_f32_e32 v129, v129                                   // 00000001ABB8: 7F024181
	v_exp_f32_e32 v130, v130                                   // 00000001ABBC: 7F044182
	v_exp_f32_e32 v131, v131                                   // 00000001ABC0: 7F064183
	v_exp_f32_e32 v132, v132                                   // 00000001ABC4: 7F084184
	v_exp_f32_e32 v133, v133                                   // 00000001ABC8: 7F0A4185
	v_exp_f32_e32 v134, v134                                   // 00000001ABCC: 7F0C4186
	v_exp_f32_e32 v135, v135                                   // 00000001ABD0: 7F0E4187
	v_exp_f32_e32 v136, v136                                   // 00000001ABD4: 7F104188
	v_exp_f32_e32 v137, v137                                   // 00000001ABD8: 7F124189
	v_exp_f32_e32 v138, v138                                   // 00000001ABDC: 7F14418A
	v_exp_f32_e32 v139, v139                                   // 00000001ABE0: 7F16418B
	v_exp_f32_e32 v140, v140                                   // 00000001ABE4: 7F18418C
	v_exp_f32_e32 v141, v141                                   // 00000001ABE8: 7F1A418D
	v_exp_f32_e32 v142, v142                                   // 00000001ABEC: 7F1C418E
	v_exp_f32_e32 v143, v143                                   // 00000001ABF0: 7F1E418F
	v_mul_f32_dpp v240, v252, v128 quad_perm:[0,0,0,0] row_mask:0xf bank_mask:0xf// 00000001ABF4: 0BE100FA FF0000FC
	v_mul_f32_dpp v241, v252, v129 quad_perm:[1,1,1,1] row_mask:0xf bank_mask:0xf// 00000001ABFC: 0BE302FA FF0055FC
	v_mul_f32_dpp v242, v252, v130 quad_perm:[2,2,2,2] row_mask:0xf bank_mask:0xf// 00000001AC04: 0BE504FA FF00AAFC
	v_mul_f32_dpp v243, v252, v131 quad_perm:[3,3,3,3] row_mask:0xf bank_mask:0xf// 00000001AC0C: 0BE706FA FF00FFFC
	v_mul_f32_dpp v244, v253, v132 quad_perm:[0,0,0,0] row_mask:0xf bank_mask:0xf// 00000001AC14: 0BE908FA FF0000FD
	v_mul_f32_dpp v245, v253, v133 quad_perm:[1,1,1,1] row_mask:0xf bank_mask:0xf// 00000001AC1C: 0BEB0AFA FF0055FD
	v_mul_f32_dpp v246, v253, v134 quad_perm:[2,2,2,2] row_mask:0xf bank_mask:0xf// 00000001AC24: 0BED0CFA FF00AAFD
	v_mul_f32_dpp v247, v253, v135 quad_perm:[3,3,3,3] row_mask:0xf bank_mask:0xf// 00000001AC2C: 0BEF0EFA FF00FFFD
	v_mul_f32_dpp v248, v254, v136 quad_perm:[0,0,0,0] row_mask:0xf bank_mask:0xf// 00000001AC34: 0BF110FA FF0000FE
	v_mul_f32_dpp v249, v254, v137 quad_perm:[1,1,1,1] row_mask:0xf bank_mask:0xf// 00000001AC3C: 0BF312FA FF0055FE
	v_mul_f32_dpp v250, v254, v138 quad_perm:[2,2,2,2] row_mask:0xf bank_mask:0xf// 00000001AC44: 0BF514FA FF00AAFE
	v_mul_f32_dpp v251, v254, v139 quad_perm:[3,3,3,3] row_mask:0xf bank_mask:0xf// 00000001AC4C: 0BF716FA FF00FFFE
	v_mul_f32_dpp v252, v255, v140 quad_perm:[0,0,0,0] row_mask:0xf bank_mask:0xf// 00000001AC54: 0BF918FA FF0000FF
	v_mul_f32_dpp v253, v255, v141 quad_perm:[1,1,1,1] row_mask:0xf bank_mask:0xf// 00000001AC5C: 0BFB1AFA FF0055FF
	v_mul_f32_dpp v254, v255, v142 quad_perm:[2,2,2,2] row_mask:0xf bank_mask:0xf// 00000001AC64: 0BFD1CFA FF00AAFF
	v_mul_f32_dpp v255, v255, v143 quad_perm:[3,3,3,3] row_mask:0xf bank_mask:0xf// 00000001AC6C: 0BFF1EFA FF00FFFF
	v_mov_b32_e32 v48, 0x358637bd                              // 00000001AC74: 7E6002FF 358637BD
	v_max3_f32 v48, |v240|, |v241|, v48                        // 00000001AC7C: D1D30330 04C3E3F0
	v_max3_f32 v48, |v242|, |v243|, v48                        // 00000001AC84: D1D30330 04C3E7F2
	v_max3_f32 v48, |v244|, |v245|, v48                        // 00000001AC8C: D1D30330 04C3EBF4
	v_max3_f32 v48, |v246|, |v247|, v48                        // 00000001AC94: D1D30330 04C3EFF6
	v_max3_f32 v48, |v248|, |v249|, v48                        // 00000001AC9C: D1D30330 04C3F3F8
	v_max3_f32 v48, |v250|, |v251|, v48                        // 00000001ACA4: D1D30330 04C3F7FA
	v_max3_f32 v48, |v252|, |v253|, v48                        // 00000001ACAC: D1D30330 04C3FBFC
	v_max3_f32 v48, |v254|, |v255|, v48                        // 00000001ACB4: D1D30330 04C3FFFE
	ds_write_b32 v8, v48 offset:20992                          // 00000001ACBC: D81A5200 00003008
	v_sub_f32_e32 v50, v12, v15                                // 00000001ACC4: 04641F0C
	v_cndmask_b32_e64 v50, v50, 0, s[40:41]                    // 00000001ACC8: D1000032 00A10132
	v_mov_b32_e32 v12, v15                                     // 00000001ACD0: 7E18030F
	v_mul_f32_e32 v50, s64, v50                                // 00000001ACD4: 0A646440
	v_exp_f32_e32 v50, v50                                     // 00000001ACD8: 7E644132
	s_waitcnt lgkmcnt(0)                                       // 00000001ACDC: BF8CC07F
	s_barrier                                                  // 00000001ACE0: BF8A0000
	ds_read_b32 v64, v7 offset:20992                           // 00000001ACE4: D86C5200 40000007
	ds_read_b32 v65, v7 offset:21056                           // 00000001ACEC: D86C5240 41000007
	ds_read_b32 v66, v7 offset:21120                           // 00000001ACF4: D86C5280 42000007
	ds_read_b32 v67, v7 offset:21184                           // 00000001ACFC: D86C52C0 43000007
	ds_read_b32 v68, v7 offset:21248                           // 00000001AD04: D86C5300 44000007
	ds_read_b32 v69, v7 offset:21312                           // 00000001AD0C: D86C5340 45000007
	ds_read_b32 v70, v7 offset:21376                           // 00000001AD14: D86C5380 46000007
	ds_read_b32 v71, v7 offset:21440                           // 00000001AD1C: D86C53C0 47000007
	ds_read_b32 v72, v7 offset:21504                           // 00000001AD24: D86C5400 48000007
	ds_read_b32 v73, v7 offset:21568                           // 00000001AD2C: D86C5440 49000007
	ds_read_b32 v74, v7 offset:21632                           // 00000001AD34: D86C5480 4A000007
	ds_read_b32 v75, v7 offset:21696                           // 00000001AD3C: D86C54C0 4B000007
	ds_read_b32 v76, v7 offset:21760                           // 00000001AD44: D86C5500 4C000007
	ds_read_b32 v77, v7 offset:21824                           // 00000001AD4C: D86C5540 4D000007
	ds_read_b32 v78, v7 offset:21888                           // 00000001AD54: D86C5580 4E000007
	ds_read_b32 v79, v7 offset:21952                           // 00000001AD5C: D86C55C0 4F000007
	v_mul_f32_e32 v39, v50, v39                                // 00000001AD64: 0A4E4F32
	v_mov_b32_e32 v15, v128                                    // 00000001AD68: 7E1E0380
	v_add_f32_e32 v15, v129, v15                               // 00000001AD6C: 021E1F81
	v_add_f32_e32 v15, v130, v15                               // 00000001AD70: 021E1F82
	v_add_f32_e32 v15, v131, v15                               // 00000001AD74: 021E1F83
	v_add_f32_e32 v15, v132, v15                               // 00000001AD78: 021E1F84
	v_add_f32_e32 v15, v133, v15                               // 00000001AD7C: 021E1F85
	v_add_f32_e32 v15, v134, v15                               // 00000001AD80: 021E1F86
	v_add_f32_e32 v15, v135, v15                               // 00000001AD84: 021E1F87
	v_add_f32_e32 v15, v136, v15                               // 00000001AD88: 021E1F88
	v_add_f32_e32 v15, v137, v15                               // 00000001AD8C: 021E1F89
	v_add_f32_e32 v15, v138, v15                               // 00000001AD90: 021E1F8A
	v_add_f32_e32 v15, v139, v15                               // 00000001AD94: 021E1F8B
	v_add_f32_e32 v15, v140, v15                               // 00000001AD98: 021E1F8C
	v_add_f32_e32 v15, v141, v15                               // 00000001AD9C: 021E1F8D
	v_add_f32_e32 v15, v142, v15                               // 00000001ADA0: 021E1F8E
	v_add_f32_e32 v15, v143, v15                               // 00000001ADA4: 021E1F8F
	v_add_f32_e32 v39, v15, v39                                // 00000001ADA8: 024E4F0F
	s_waitcnt lgkmcnt(0)                                       // 00000001ADAC: BF8CC07F
	v_max3_f32 v48, |v64|, |v65|, v48                          // 00000001ADB0: D1D30330 04C28340
	v_max3_f32 v48, |v66|, |v67|, v48                          // 00000001ADB8: D1D30330 04C28742
	v_max3_f32 v48, |v68|, |v69|, v48                          // 00000001ADC0: D1D30330 04C28B44
	v_max3_f32 v48, |v70|, |v71|, v48                          // 00000001ADC8: D1D30330 04C28F46
	v_max3_f32 v48, |v72|, |v73|, v48                          // 00000001ADD0: D1D30330 04C29348
	v_max3_f32 v48, |v74|, |v75|, v48                          // 00000001ADD8: D1D30330 04C2974A
	v_max3_f32 v48, |v76|, |v77|, v48                          // 00000001ADE0: D1D30330 04C29B4C
	v_max3_f32 v48, |v78|, |v79|, v48                          // 00000001ADE8: D1D30330 04C29F4E
	s_nop 2                                                    // 00000001ADF0: BF800002
	v_rcp_f32_e32 v48, v48                                     // 00000001ADF4: 7E604530
	s_nop 1                                                    // 00000001ADF8: BF800001
	v_mul_f32_e32 v48, 0x43e00000, v48                         // 00000001ADFC: 0A6060FF 43E00000
	v_mul_f32_e32 v128, v48, v240                              // 00000001AE04: 0B01E130
	v_mul_f32_e32 v129, v48, v241                              // 00000001AE08: 0B03E330
	v_mul_f32_e32 v130, v48, v242                              // 00000001AE0C: 0B05E530
	v_mul_f32_e32 v131, v48, v243                              // 00000001AE10: 0B07E730
	v_mul_f32_e32 v132, v48, v244                              // 00000001AE14: 0B09E930
	v_mul_f32_e32 v133, v48, v245                              // 00000001AE18: 0B0BEB30
	v_mul_f32_e32 v134, v48, v246                              // 00000001AE1C: 0B0DED30
	v_mul_f32_e32 v135, v48, v247                              // 00000001AE20: 0B0FEF30
	v_mul_f32_e32 v136, v48, v248                              // 00000001AE24: 0B11F130
	v_mul_f32_e32 v137, v48, v249                              // 00000001AE28: 0B13F330
	v_mul_f32_e32 v138, v48, v250                              // 00000001AE2C: 0B15F530
	v_mul_f32_e32 v139, v48, v251                              // 00000001AE30: 0B17F730
	v_mul_f32_e32 v140, v48, v252                              // 00000001AE34: 0B19F930
	v_mul_f32_e32 v141, v48, v253                              // 00000001AE38: 0B1BFB30
	v_mul_f32_e32 v142, v48, v254                              // 00000001AE3C: 0B1DFD30
	v_mul_f32_e32 v143, v48, v255                              // 00000001AE40: 0B1FFF30
	v_cvt_pk_fp8_f32 v128, v128, v129                          // 00000001AE44: D2A20080 00030380
	v_cvt_pk_fp8_f32 v128, v130, v131 op_sel:[0,0,1]           // 00000001AE4C: D2A24080 00030782
	v_cvt_pk_fp8_f32 v129, v132, v133                          // 00000001AE54: D2A20081 00030B84
	v_cvt_pk_fp8_f32 v129, v134, v135 op_sel:[0,0,1]           // 00000001AE5C: D2A24081 00030F86
	v_cvt_pk_fp8_f32 v130, v136, v137                          // 00000001AE64: D2A20082 00031388
	v_cvt_pk_fp8_f32 v130, v138, v139 op_sel:[0,0,1]           // 00000001AE6C: D2A24082 0003178A
	v_cvt_pk_fp8_f32 v131, v140, v141                          // 00000001AE74: D2A20083 00031B8C
	v_cvt_pk_fp8_f32 v131, v142, v143 op_sel:[0,0,1]           // 00000001AE7C: D2A24083 00031F8E
	ds_write_b32 v10, v128 offset:29184                        // 00000001AE84: D81A7200 0000800A
	ds_write_b32 v10, v129 offset:30208                        // 00000001AE8C: D81A7600 0000810A
	ds_write_b32 v10, v130 offset:31232                        // 00000001AE94: D81A7A00 0000820A
	ds_write_b32 v10, v131 offset:32256                        // 00000001AE9C: D81A7E00 0000830A
	v_add_f32_e32 v216, v216, v184                             // 00000001AEA4: 03B171D8
	v_add_f32_e32 v217, v217, v185                             // 00000001AEA8: 03B373D9
	v_add_f32_e32 v218, v218, v186                             // 00000001AEAC: 03B575DA
	v_add_f32_e32 v219, v219, v187                             // 00000001AEB0: 03B777DB
	v_add_f32_e32 v220, v220, v188                             // 00000001AEB4: 03B979DC
	v_add_f32_e32 v221, v221, v189                             // 00000001AEB8: 03BB7BDD
	v_add_f32_e32 v222, v222, v190                             // 00000001AEBC: 03BD7DDE
	v_add_f32_e32 v223, v223, v191                             // 00000001AEC0: 03BF7FDF
	v_rcp_f32_e32 v45, v48                                     // 00000001AEC4: 7E5A4530
	s_waitcnt lgkmcnt(0)                                       // 00000001AEC8: BF8CC07F
	s_barrier                                                  // 00000001AECC: BF8A0000
	ds_read_b64 v[128:129], v9 offset:29184                    // 00000001AED0: D8EC7200 80000009
	ds_read_b64 v[130:131], v9 offset:29312                    // 00000001AED8: D8EC7280 82000009
	ds_read_b64 v[132:133], v9 offset:30208                    // 00000001AEE0: D8EC7600 84000009
	ds_read_b64 v[134:135], v9 offset:30336                    // 00000001AEE8: D8EC7680 86000009
	ds_read_b64 v[136:137], v9 offset:31232                    // 00000001AEF0: D8EC7A00 88000009
	ds_read_b64 v[138:139], v9 offset:31360                    // 00000001AEF8: D8EC7A80 8A000009
	ds_read_b64 v[140:141], v9 offset:32256                    // 00000001AF00: D8EC7E00 8C000009
	ds_read_b64 v[142:143], v9 offset:32384                    // 00000001AF08: D8EC7E80 8E000009
	v_mov_b32_dpp v64, v42 row_shr:4 row_mask:0xf bank_mask:0xf// 00000001AF10: 7E8002FA FF01142A
	v_mov_b32_dpp v65, v42 row_shl:4 row_mask:0xf bank_mask:0xf// 00000001AF18: 7E8202FA FF01042A
	v_cndmask_b32_e64 v248, v42, v64, s[44:45]                 // 00000001AF20: D10000F8 00B2812A
	v_cndmask_b32_e64 v249, v65, v42, s[44:45]                 // 00000001AF28: D10000F9 00B25541
	v_mov_b32_dpp v64, v248 row_shr:8 row_mask:0xf bank_mask:0xf// 00000001AF30: 7E8002FA FF0118F8
	v_mov_b32_dpp v65, v248 row_shl:8 row_mask:0xf bank_mask:0xf// 00000001AF38: 7E8202FA FF0108F8
	v_mov_b32_dpp v66, v249 row_shr:8 row_mask:0xf bank_mask:0xf// 00000001AF40: 7E8402FA FF0118F9
	v_mov_b32_dpp v67, v249 row_shl:8 row_mask:0xf bank_mask:0xf// 00000001AF48: 7E8602FA FF0108F9
	v_mov_b32_e32 v68, v248                                    // 00000001AF50: 7E8803F8
	v_mov_b32_e32 v69, v249                                    // 00000001AF54: 7E8A03F9
	v_cndmask_b32_e64 v248, v68, v64, s[42:43]                 // 00000001AF58: D10000F8 00AA8144
	v_cndmask_b32_e64 v250, v68, v65, s[78:79]                 // 00000001AF60: D10000FA 013A8344
	v_cndmask_b32_e64 v249, v69, v66, s[42:43]                 // 00000001AF68: D10000F9 00AA8545
	v_cndmask_b32_e64 v251, v69, v67, s[78:79]                 // 00000001AF70: D10000FB 013A8745
	v_mov_b32_dpp v64, v57 row_shr:4 row_mask:0xf bank_mask:0xf// 00000001AF78: 7E8002FA FF011439
	v_mov_b32_dpp v65, v57 row_shl:4 row_mask:0xf bank_mask:0xf// 00000001AF80: 7E8202FA FF010439
	v_cndmask_b32_e64 v252, v57, v64, s[44:45]                 // 00000001AF88: D10000FC 00B28139
	v_cndmask_b32_e64 v253, v65, v57, s[44:45]                 // 00000001AF90: D10000FD 00B27341
	v_mov_b32_dpp v64, v252 row_shr:8 row_mask:0xf bank_mask:0xf// 00000001AF98: 7E8002FA FF0118FC
	v_mov_b32_dpp v65, v252 row_shl:8 row_mask:0xf bank_mask:0xf// 00000001AFA0: 7E8202FA FF0108FC
	v_mov_b32_dpp v66, v253 row_shr:8 row_mask:0xf bank_mask:0xf// 00000001AFA8: 7E8402FA FF0118FD
	v_mov_b32_dpp v67, v253 row_shl:8 row_mask:0xf bank_mask:0xf// 00000001AFB0: 7E8602FA FF0108FD
	v_mov_b32_e32 v68, v252                                    // 00000001AFB8: 7E8803FC
	v_mov_b32_e32 v69, v253                                    // 00000001AFBC: 7E8A03FD
	v_cndmask_b32_e64 v252, v68, v64, s[42:43]                 // 00000001AFC0: D10000FC 00AA8144
	v_cndmask_b32_e64 v254, v68, v65, s[78:79]                 // 00000001AFC8: D10000FE 013A8344
	v_cndmask_b32_e64 v253, v69, v66, s[42:43]                 // 00000001AFD0: D10000FD 00AA8545
	v_cndmask_b32_e64 v255, v69, v67, s[78:79]                 // 00000001AFD8: D10000FF 013A8745
	v_mul_f32_e32 v144, v20, v144                              // 00000001AFE0: 0B212114
	v_mul_f32_e32 v145, v20, v145                              // 00000001AFE4: 0B232314
	v_mul_f32_e32 v146, v20, v146                              // 00000001AFE8: 0B252514
	v_mul_f32_e32 v147, v20, v147                              // 00000001AFEC: 0B272714
	v_mul_f32_e32 v148, v20, v148                              // 00000001AFF0: 0B292914
	v_mul_f32_e32 v149, v20, v149                              // 00000001AFF4: 0B2B2B14
	v_mul_f32_e32 v150, v20, v150                              // 00000001AFF8: 0B2D2D14
	v_mul_f32_e32 v151, v20, v151                              // 00000001AFFC: 0B2F2F14
	v_mul_f32_e32 v152, v20, v152                              // 00000001B000: 0B313114
	v_mul_f32_e32 v153, v20, v153                              // 00000001B004: 0B333314
	v_mul_f32_e32 v154, v20, v154                              // 00000001B008: 0B353514
	v_mul_f32_e32 v155, v20, v155                              // 00000001B00C: 0B373714
	v_mul_f32_e32 v156, v20, v156                              // 00000001B010: 0B393914
	v_mul_f32_e32 v157, v20, v157                              // 00000001B014: 0B3B3B14
	v_mul_f32_e32 v158, v20, v158                              // 00000001B018: 0B3D3D14
	v_mul_f32_e32 v159, v20, v159                              // 00000001B01C: 0B3F3F14
	v_mul_f32_dpp v144, v248, v144 quad_perm:[0,0,0,0] row_mask:0xf bank_mask:0xf// 00000001B020: 0B2120FA FF0000F8
	v_mul_f32_dpp v145, v248, v145 quad_perm:[1,1,1,1] row_mask:0xf bank_mask:0xf// 00000001B028: 0B2322FA FF0055F8
	v_mul_f32_dpp v146, v248, v146 quad_perm:[2,2,2,2] row_mask:0xf bank_mask:0xf// 00000001B030: 0B2524FA FF00AAF8
	v_mul_f32_dpp v147, v248, v147 quad_perm:[3,3,3,3] row_mask:0xf bank_mask:0xf// 00000001B038: 0B2726FA FF00FFF8
	v_mul_f32_dpp v148, v249, v148 quad_perm:[0,0,0,0] row_mask:0xf bank_mask:0xf// 00000001B040: 0B2928FA FF0000F9
	v_mul_f32_dpp v149, v249, v149 quad_perm:[1,1,1,1] row_mask:0xf bank_mask:0xf// 00000001B048: 0B2B2AFA FF0055F9
	v_mul_f32_dpp v150, v249, v150 quad_perm:[2,2,2,2] row_mask:0xf bank_mask:0xf// 00000001B050: 0B2D2CFA FF00AAF9
	v_mul_f32_dpp v151, v249, v151 quad_perm:[3,3,3,3] row_mask:0xf bank_mask:0xf// 00000001B058: 0B2F2EFA FF00FFF9
	v_mul_f32_dpp v152, v250, v152 quad_perm:[0,0,0,0] row_mask:0xf bank_mask:0xf// 00000001B060: 0B3130FA FF0000FA
	v_mul_f32_dpp v153, v250, v153 quad_perm:[1,1,1,1] row_mask:0xf bank_mask:0xf// 00000001B068: 0B3332FA FF0055FA
	v_mul_f32_dpp v154, v250, v154 quad_perm:[2,2,2,2] row_mask:0xf bank_mask:0xf// 00000001B070: 0B3534FA FF00AAFA
	v_mul_f32_dpp v155, v250, v155 quad_perm:[3,3,3,3] row_mask:0xf bank_mask:0xf// 00000001B078: 0B3736FA FF00FFFA
	v_mul_f32_dpp v156, v251, v156 quad_perm:[0,0,0,0] row_mask:0xf bank_mask:0xf// 00000001B080: 0B3938FA FF0000FB
	v_mul_f32_dpp v157, v251, v157 quad_perm:[1,1,1,1] row_mask:0xf bank_mask:0xf// 00000001B088: 0B3B3AFA FF0055FB
	v_mul_f32_dpp v158, v251, v158 quad_perm:[2,2,2,2] row_mask:0xf bank_mask:0xf// 00000001B090: 0B3D3CFA FF00AAFB
	v_mul_f32_dpp v159, v251, v159 quad_perm:[3,3,3,3] row_mask:0xf bank_mask:0xf// 00000001B098: 0B3F3EFA FF00FFFB
	v_mov_b32_e32 v48, v144                                    // 00000001B0A0: 7E600390
	v_max3_f32 v48, v144, v145, v48                            // 00000001B0A4: D1D30030 04C32390
	v_max3_f32 v48, v146, v147, v48                            // 00000001B0AC: D1D30030 04C32792
	v_max3_f32 v48, v148, v149, v48                            // 00000001B0B4: D1D30030 04C32B94
	v_max3_f32 v48, v150, v151, v48                            // 00000001B0BC: D1D30030 04C32F96
	v_max3_f32 v48, v152, v153, v48                            // 00000001B0C4: D1D30030 04C33398
	v_max3_f32 v48, v154, v155, v48                            // 00000001B0CC: D1D30030 04C3379A
	v_max3_f32 v48, v156, v157, v48                            // 00000001B0D4: D1D30030 04C33B9C
	v_max3_f32 v48, v158, v159, v48                            // 00000001B0DC: D1D30030 04C33F9E
	ds_write_b32 v8, v48 offset:16896                          // 00000001B0E4: D81A4200 00003008
	v_mul_f32_e32 v224, v51, v224                              // 00000001B0EC: 0BC1C133
	v_mul_f32_e32 v225, v51, v225                              // 00000001B0F0: 0BC3C333
	v_mul_f32_e32 v226, v51, v226                              // 00000001B0F4: 0BC5C533
	v_mul_f32_e32 v227, v51, v227                              // 00000001B0F8: 0BC7C733
	v_mul_f32_e32 v228, v51, v228                              // 00000001B0FC: 0BC9C933
	v_mul_f32_e32 v229, v51, v229                              // 00000001B100: 0BCBCB33
	v_mul_f32_e32 v230, v51, v230                              // 00000001B104: 0BCDCD33
	v_mul_f32_e32 v231, v51, v231                              // 00000001B108: 0BCFCF33
	s_waitcnt lgkmcnt(0)                                       // 00000001B10C: BF8CC07F
	s_barrier                                                  // 00000001B110: BF8A0000
	ds_read_b32 v64, v7 offset:16896                           // 00000001B114: D86C4200 40000007
	ds_read_b32 v65, v7 offset:16960                           // 00000001B11C: D86C4240 41000007
	ds_read_b32 v66, v7 offset:17024                           // 00000001B124: D86C4280 42000007
	ds_read_b32 v67, v7 offset:17088                           // 00000001B12C: D86C42C0 43000007
	ds_read_b32 v68, v7 offset:17152                           // 00000001B134: D86C4300 44000007
	ds_read_b32 v69, v7 offset:17216                           // 00000001B13C: D86C4340 45000007
	ds_read_b32 v70, v7 offset:17280                           // 00000001B144: D86C4380 46000007
	ds_read_b32 v71, v7 offset:17344                           // 00000001B14C: D86C43C0 47000007
	ds_read_b32 v72, v7 offset:17408                           // 00000001B154: D86C4400 48000007
	ds_read_b32 v73, v7 offset:17472                           // 00000001B15C: D86C4440 49000007
	ds_read_b32 v74, v7 offset:17536                           // 00000001B164: D86C4480 4A000007
	ds_read_b32 v75, v7 offset:17600                           // 00000001B16C: D86C44C0 4B000007
	ds_read_b32 v76, v7 offset:17664                           // 00000001B174: D86C4500 4C000007
	ds_read_b32 v77, v7 offset:17728                           // 00000001B17C: D86C4540 4D000007
	ds_read_b32 v78, v7 offset:17792                           // 00000001B184: D86C4580 4E000007
	ds_read_b32 v79, v7 offset:17856                           // 00000001B18C: D86C45C0 4F000007
	v_mul_f32_e32 v192, v46, v192                              // 00000001B194: 0B81812E
	v_mul_f32_e32 v193, v46, v193                              // 00000001B198: 0B83832E
	v_mul_f32_e32 v194, v46, v194                              // 00000001B19C: 0B85852E
	v_mul_f32_e32 v195, v46, v195                              // 00000001B1A0: 0B87872E
	v_mul_f32_e32 v196, v46, v196                              // 00000001B1A4: 0B89892E
	v_mul_f32_e32 v197, v46, v197                              // 00000001B1A8: 0B8B8B2E
	v_mul_f32_e32 v198, v46, v198                              // 00000001B1AC: 0B8D8D2E
	v_mul_f32_e32 v199, v46, v199                              // 00000001B1B0: 0B8F8F2E
	s_waitcnt lgkmcnt(0)                                       // 00000001B1B4: BF8CC07F
	v_max3_f32 v48, v64, v65, v48                              // 00000001B1B8: D1D30030 04C28340
	v_max3_f32 v48, v66, v67, v48                              // 00000001B1C0: D1D30030 04C28742
	v_max3_f32 v48, v68, v69, v48                              // 00000001B1C8: D1D30030 04C28B44
	v_max3_f32 v48, v70, v71, v48                              // 00000001B1D0: D1D30030 04C28F46
	v_max3_f32 v48, v72, v73, v48                              // 00000001B1D8: D1D30030 04C29348
	v_max3_f32 v48, v74, v75, v48                              // 00000001B1E0: D1D30030 04C2974A
	v_max3_f32 v48, v76, v77, v48                              // 00000001B1E8: D1D30030 04C29B4C
	v_max3_f32 v48, v78, v79, v48                              // 00000001B1F0: D1D30030 04C29F4E
	v_mov_b32_e32 v64, 0xff800000                              // 00000001B1F8: 7E8002FF FF800000
	v_cmp_eq_u32_e64 s[40:41], v64, v13                        // 00000001B200: D0CA0028 00021B40
	s_nop 1                                                    // 00000001B208: BF800001
	v_max_f32_e32 v15, v48, v13                                // 00000001B20C: 161E1B30
	v_mul_f32_e32 v53, s64, v15                                // 00000001B210: 0A6A1E40
	v_fma_f32 v144, v144, s64, -v53                            // 00000001B214: D1CB0090 84D48190
	v_fma_f32 v145, v145, s64, -v53                            // 00000001B21C: D1CB0091 84D48191
	v_fma_f32 v146, v146, s64, -v53                            // 00000001B224: D1CB0092 84D48192
	v_fma_f32 v147, v147, s64, -v53                            // 00000001B22C: D1CB0093 84D48193
	v_fma_f32 v148, v148, s64, -v53                            // 00000001B234: D1CB0094 84D48194
	v_fma_f32 v149, v149, s64, -v53                            // 00000001B23C: D1CB0095 84D48195
	v_fma_f32 v150, v150, s64, -v53                            // 00000001B244: D1CB0096 84D48196
	v_fma_f32 v151, v151, s64, -v53                            // 00000001B24C: D1CB0097 84D48197
	v_fma_f32 v152, v152, s64, -v53                            // 00000001B254: D1CB0098 84D48198
	v_fma_f32 v153, v153, s64, -v53                            // 00000001B25C: D1CB0099 84D48199
	v_fma_f32 v154, v154, s64, -v53                            // 00000001B264: D1CB009A 84D4819A
	v_fma_f32 v155, v155, s64, -v53                            // 00000001B26C: D1CB009B 84D4819B
	v_fma_f32 v156, v156, s64, -v53                            // 00000001B274: D1CB009C 84D4819C
	v_fma_f32 v157, v157, s64, -v53                            // 00000001B27C: D1CB009D 84D4819D
	v_fma_f32 v158, v158, s64, -v53                            // 00000001B284: D1CB009E 84D4819E
	v_fma_f32 v159, v159, s64, -v53                            // 00000001B28C: D1CB009F 84D4819F
	v_exp_f32_e32 v144, v144                                   // 00000001B294: 7F204190
	v_exp_f32_e32 v145, v145                                   // 00000001B298: 7F224191
	v_exp_f32_e32 v146, v146                                   // 00000001B29C: 7F244192
	v_exp_f32_e32 v147, v147                                   // 00000001B2A0: 7F264193
	v_exp_f32_e32 v148, v148                                   // 00000001B2A4: 7F284194
	v_exp_f32_e32 v149, v149                                   // 00000001B2A8: 7F2A4195
	v_exp_f32_e32 v150, v150                                   // 00000001B2AC: 7F2C4196
	v_exp_f32_e32 v151, v151                                   // 00000001B2B0: 7F2E4197
	v_exp_f32_e32 v152, v152                                   // 00000001B2B4: 7F304198
	v_exp_f32_e32 v153, v153                                   // 00000001B2B8: 7F324199
	v_exp_f32_e32 v154, v154                                   // 00000001B2BC: 7F34419A
	v_exp_f32_e32 v155, v155                                   // 00000001B2C0: 7F36419B
	v_exp_f32_e32 v156, v156                                   // 00000001B2C4: 7F38419C
	v_exp_f32_e32 v157, v157                                   // 00000001B2C8: 7F3A419D
	v_exp_f32_e32 v158, v158                                   // 00000001B2CC: 7F3C419E
	v_exp_f32_e32 v159, v159                                   // 00000001B2D0: 7F3E419F
	v_mul_f32_dpp v240, v252, v144 quad_perm:[0,0,0,0] row_mask:0xf bank_mask:0xf// 00000001B2D4: 0BE120FA FF0000FC
	v_mul_f32_dpp v241, v252, v145 quad_perm:[1,1,1,1] row_mask:0xf bank_mask:0xf// 00000001B2DC: 0BE322FA FF0055FC
	v_mul_f32_dpp v242, v252, v146 quad_perm:[2,2,2,2] row_mask:0xf bank_mask:0xf// 00000001B2E4: 0BE524FA FF00AAFC
	v_mul_f32_dpp v243, v252, v147 quad_perm:[3,3,3,3] row_mask:0xf bank_mask:0xf// 00000001B2EC: 0BE726FA FF00FFFC
	v_mul_f32_dpp v244, v253, v148 quad_perm:[0,0,0,0] row_mask:0xf bank_mask:0xf// 00000001B2F4: 0BE928FA FF0000FD
	v_mul_f32_dpp v245, v253, v149 quad_perm:[1,1,1,1] row_mask:0xf bank_mask:0xf// 00000001B2FC: 0BEB2AFA FF0055FD
	v_mul_f32_dpp v246, v253, v150 quad_perm:[2,2,2,2] row_mask:0xf bank_mask:0xf// 00000001B304: 0BED2CFA FF00AAFD
	v_mul_f32_dpp v247, v253, v151 quad_perm:[3,3,3,3] row_mask:0xf bank_mask:0xf// 00000001B30C: 0BEF2EFA FF00FFFD
	v_mul_f32_dpp v248, v254, v152 quad_perm:[0,0,0,0] row_mask:0xf bank_mask:0xf// 00000001B314: 0BF130FA FF0000FE
	v_mul_f32_dpp v249, v254, v153 quad_perm:[1,1,1,1] row_mask:0xf bank_mask:0xf// 00000001B31C: 0BF332FA FF0055FE
	v_mul_f32_dpp v250, v254, v154 quad_perm:[2,2,2,2] row_mask:0xf bank_mask:0xf// 00000001B324: 0BF534FA FF00AAFE
	v_mul_f32_dpp v251, v254, v155 quad_perm:[3,3,3,3] row_mask:0xf bank_mask:0xf// 00000001B32C: 0BF736FA FF00FFFE
	v_mul_f32_dpp v252, v255, v156 quad_perm:[0,0,0,0] row_mask:0xf bank_mask:0xf// 00000001B334: 0BF938FA FF0000FF
	v_mul_f32_dpp v253, v255, v157 quad_perm:[1,1,1,1] row_mask:0xf bank_mask:0xf// 00000001B33C: 0BFB3AFA FF0055FF
	v_mul_f32_dpp v254, v255, v158 quad_perm:[2,2,2,2] row_mask:0xf bank_mask:0xf// 00000001B344: 0BFD3CFA FF00AAFF
	v_mul_f32_dpp v255, v255, v159 quad_perm:[3,3,3,3] row_mask:0xf bank_mask:0xf// 00000001B34C: 0BFF3EFA FF00FFFF
	v_mov_b32_e32 v48, 0x358637bd                              // 00000001B354: 7E6002FF 358637BD
	v_max3_f32 v48, |v240|, |v241|, v48                        // 00000001B35C: D1D30330 04C3E3F0
	v_max3_f32 v48, |v242|, |v243|, v48                        // 00000001B364: D1D30330 04C3E7F2
	v_max3_f32 v48, |v244|, |v245|, v48                        // 00000001B36C: D1D30330 04C3EBF4
	v_max3_f32 v48, |v246|, |v247|, v48                        // 00000001B374: D1D30330 04C3EFF6
	v_max3_f32 v48, |v248|, |v249|, v48                        // 00000001B37C: D1D30330 04C3F3F8
	v_max3_f32 v48, |v250|, |v251|, v48                        // 00000001B384: D1D30330 04C3F7FA
	v_max3_f32 v48, |v252|, |v253|, v48                        // 00000001B38C: D1D30330 04C3FBFC
	v_max3_f32 v48, |v254|, |v255|, v48                        // 00000001B394: D1D30330 04C3FFFE
	ds_write_b32 v8, v48 offset:20992                          // 00000001B39C: D81A5200 00003008
	v_sub_f32_e32 v51, v13, v15                                // 00000001B3A4: 04661F0D
	v_cndmask_b32_e64 v51, v51, 0, s[40:41]                    // 00000001B3A8: D1000033 00A10133
	v_mov_b32_e32 v13, v15                                     // 00000001B3B0: 7E1A030F
	v_mul_f32_e32 v51, s64, v51                                // 00000001B3B4: 0A666640
	v_exp_f32_e32 v51, v51                                     // 00000001B3B8: 7E664133
	s_waitcnt lgkmcnt(0)                                       // 00000001B3BC: BF8CC07F
	s_barrier                                                  // 00000001B3C0: BF8A0000
	ds_read_b32 v64, v7 offset:20992                           // 00000001B3C4: D86C5200 40000007
	ds_read_b32 v65, v7 offset:21056                           // 00000001B3CC: D86C5240 41000007
	ds_read_b32 v66, v7 offset:21120                           // 00000001B3D4: D86C5280 42000007
	ds_read_b32 v67, v7 offset:21184                           // 00000001B3DC: D86C52C0 43000007
	ds_read_b32 v68, v7 offset:21248                           // 00000001B3E4: D86C5300 44000007
	ds_read_b32 v69, v7 offset:21312                           // 00000001B3EC: D86C5340 45000007
	ds_read_b32 v70, v7 offset:21376                           // 00000001B3F4: D86C5380 46000007
	ds_read_b32 v71, v7 offset:21440                           // 00000001B3FC: D86C53C0 47000007
	ds_read_b32 v72, v7 offset:21504                           // 00000001B404: D86C5400 48000007
	ds_read_b32 v73, v7 offset:21568                           // 00000001B40C: D86C5440 49000007
	ds_read_b32 v74, v7 offset:21632                           // 00000001B414: D86C5480 4A000007
	ds_read_b32 v75, v7 offset:21696                           // 00000001B41C: D86C54C0 4B000007
	ds_read_b32 v76, v7 offset:21760                           // 00000001B424: D86C5500 4C000007
	ds_read_b32 v77, v7 offset:21824                           // 00000001B42C: D86C5540 4D000007
	ds_read_b32 v78, v7 offset:21888                           // 00000001B434: D86C5580 4E000007
	ds_read_b32 v79, v7 offset:21952                           // 00000001B43C: D86C55C0 4F000007
	v_mul_f32_e32 v40, v51, v40                                // 00000001B444: 0A505133
	v_mov_b32_e32 v15, v144                                    // 00000001B448: 7E1E0390
	v_add_f32_e32 v15, v145, v15                               // 00000001B44C: 021E1F91
	v_add_f32_e32 v15, v146, v15                               // 00000001B450: 021E1F92
	v_add_f32_e32 v15, v147, v15                               // 00000001B454: 021E1F93
	v_add_f32_e32 v15, v148, v15                               // 00000001B458: 021E1F94
	v_add_f32_e32 v15, v149, v15                               // 00000001B45C: 021E1F95
	v_add_f32_e32 v15, v150, v15                               // 00000001B460: 021E1F96
	v_add_f32_e32 v15, v151, v15                               // 00000001B464: 021E1F97
	v_add_f32_e32 v15, v152, v15                               // 00000001B468: 021E1F98
	v_add_f32_e32 v15, v153, v15                               // 00000001B46C: 021E1F99
	v_add_f32_e32 v15, v154, v15                               // 00000001B470: 021E1F9A
	v_add_f32_e32 v15, v155, v15                               // 00000001B474: 021E1F9B
	v_add_f32_e32 v15, v156, v15                               // 00000001B478: 021E1F9C
	v_add_f32_e32 v15, v157, v15                               // 00000001B47C: 021E1F9D
	v_add_f32_e32 v15, v158, v15                               // 00000001B480: 021E1F9E
	v_add_f32_e32 v15, v159, v15                               // 00000001B484: 021E1F9F
	v_add_f32_e32 v40, v15, v40                                // 00000001B488: 0250510F
	s_waitcnt lgkmcnt(0)                                       // 00000001B48C: BF8CC07F
	v_max3_f32 v48, |v64|, |v65|, v48                          // 00000001B490: D1D30330 04C28340
	v_max3_f32 v48, |v66|, |v67|, v48                          // 00000001B498: D1D30330 04C28742
	v_max3_f32 v48, |v68|, |v69|, v48                          // 00000001B4A0: D1D30330 04C28B44
	v_max3_f32 v48, |v70|, |v71|, v48                          // 00000001B4A8: D1D30330 04C28F46
	v_max3_f32 v48, |v72|, |v73|, v48                          // 00000001B4B0: D1D30330 04C29348
	v_max3_f32 v48, |v74|, |v75|, v48                          // 00000001B4B8: D1D30330 04C2974A
	v_max3_f32 v48, |v76|, |v77|, v48                          // 00000001B4C0: D1D30330 04C29B4C
	v_max3_f32 v48, |v78|, |v79|, v48                          // 00000001B4C8: D1D30330 04C29F4E
	s_nop 2                                                    // 00000001B4D0: BF800002
	v_rcp_f32_e32 v48, v48                                     // 00000001B4D4: 7E604530
	s_nop 1                                                    // 00000001B4D8: BF800001
	v_mul_f32_e32 v48, 0x43e00000, v48                         // 00000001B4DC: 0A6060FF 43E00000
	v_mul_f32_e32 v144, v48, v240                              // 00000001B4E4: 0B21E130
	v_mul_f32_e32 v145, v48, v241                              // 00000001B4E8: 0B23E330
	v_mul_f32_e32 v146, v48, v242                              // 00000001B4EC: 0B25E530
	v_mul_f32_e32 v147, v48, v243                              // 00000001B4F0: 0B27E730
	v_mul_f32_e32 v148, v48, v244                              // 00000001B4F4: 0B29E930
	v_mul_f32_e32 v149, v48, v245                              // 00000001B4F8: 0B2BEB30
	v_mul_f32_e32 v150, v48, v246                              // 00000001B4FC: 0B2DED30
	v_mul_f32_e32 v151, v48, v247                              // 00000001B500: 0B2FEF30
	v_mul_f32_e32 v152, v48, v248                              // 00000001B504: 0B31F130
	v_mul_f32_e32 v153, v48, v249                              // 00000001B508: 0B33F330
	v_mul_f32_e32 v154, v48, v250                              // 00000001B50C: 0B35F530
	v_mul_f32_e32 v155, v48, v251                              // 00000001B510: 0B37F730
	v_mul_f32_e32 v156, v48, v252                              // 00000001B514: 0B39F930
	v_mul_f32_e32 v157, v48, v253                              // 00000001B518: 0B3BFB30
	v_mul_f32_e32 v158, v48, v254                              // 00000001B51C: 0B3DFD30
	v_mul_f32_e32 v159, v48, v255                              // 00000001B520: 0B3FFF30
	v_cvt_pk_fp8_f32 v144, v144, v145                          // 00000001B524: D2A20090 00032390
	v_cvt_pk_fp8_f32 v144, v146, v147 op_sel:[0,0,1]           // 00000001B52C: D2A24090 00032792
	v_cvt_pk_fp8_f32 v145, v148, v149                          // 00000001B534: D2A20091 00032B94
	v_cvt_pk_fp8_f32 v145, v150, v151 op_sel:[0,0,1]           // 00000001B53C: D2A24091 00032F96
	v_cvt_pk_fp8_f32 v146, v152, v153                          // 00000001B544: D2A20092 00033398
	v_cvt_pk_fp8_f32 v146, v154, v155 op_sel:[0,0,1]           // 00000001B54C: D2A24092 0003379A
	v_cvt_pk_fp8_f32 v147, v156, v157                          // 00000001B554: D2A20093 00033B9C
	v_cvt_pk_fp8_f32 v147, v158, v159 op_sel:[0,0,1]           // 00000001B55C: D2A24093 00033F9E
	ds_write_b32 v10, v144 offset:33280                        // 00000001B564: D81A8200 0000900A
	ds_write_b32 v10, v145 offset:34304                        // 00000001B56C: D81A8600 0000910A
	ds_write_b32 v10, v146 offset:35328                        // 00000001B574: D81A8A00 0000920A
	ds_write_b32 v10, v147 offset:36352                        // 00000001B57C: D81A8E00 0000930A
	v_add_f32_e32 v224, v224, v192                             // 00000001B584: 03C181E0
	v_add_f32_e32 v225, v225, v193                             // 00000001B588: 03C383E1
	v_add_f32_e32 v226, v226, v194                             // 00000001B58C: 03C585E2
	v_add_f32_e32 v227, v227, v195                             // 00000001B590: 03C787E3
	v_add_f32_e32 v228, v228, v196                             // 00000001B594: 03C989E4
	v_add_f32_e32 v229, v229, v197                             // 00000001B598: 03CB8BE5
	v_add_f32_e32 v230, v230, v198                             // 00000001B59C: 03CD8DE6
	v_add_f32_e32 v231, v231, v199                             // 00000001B5A0: 03CF8FE7
	v_rcp_f32_e32 v46, v48                                     // 00000001B5A4: 7E5C4530
	s_waitcnt lgkmcnt(0)                                       // 00000001B5A8: BF8CC07F
	s_barrier                                                  // 00000001B5AC: BF8A0000
	ds_read_b64 v[144:145], v9 offset:33280                    // 00000001B5B0: D8EC8200 90000009
	ds_read_b64 v[146:147], v9 offset:33408                    // 00000001B5B8: D8EC8280 92000009
	ds_read_b64 v[148:149], v9 offset:34304                    // 00000001B5C0: D8EC8600 94000009
	ds_read_b64 v[150:151], v9 offset:34432                    // 00000001B5C8: D8EC8680 96000009
	ds_read_b64 v[152:153], v9 offset:35328                    // 00000001B5D0: D8EC8A00 98000009
	ds_read_b64 v[154:155], v9 offset:35456                    // 00000001B5D8: D8EC8A80 9A000009
	ds_read_b64 v[156:157], v9 offset:36352                    // 00000001B5E0: D8EC8E00 9C000009
	ds_read_b64 v[158:159], v9 offset:36480                    // 00000001B5E8: D8EC8E80 9E000009
	v_mov_b32_dpp v64, v42 row_shr:4 row_mask:0xf bank_mask:0xf// 00000001B5F0: 7E8002FA FF01142A
	v_mov_b32_dpp v65, v42 row_shl:4 row_mask:0xf bank_mask:0xf// 00000001B5F8: 7E8202FA FF01042A
	v_cndmask_b32_e64 v248, v42, v64, s[44:45]                 // 00000001B600: D10000F8 00B2812A
	v_cndmask_b32_e64 v249, v65, v42, s[44:45]                 // 00000001B608: D10000F9 00B25541
	v_mov_b32_dpp v64, v248 row_shr:8 row_mask:0xf bank_mask:0xf// 00000001B610: 7E8002FA FF0118F8
	v_mov_b32_dpp v65, v248 row_shl:8 row_mask:0xf bank_mask:0xf// 00000001B618: 7E8202FA FF0108F8
	v_mov_b32_dpp v66, v249 row_shr:8 row_mask:0xf bank_mask:0xf// 00000001B620: 7E8402FA FF0118F9
	v_mov_b32_dpp v67, v249 row_shl:8 row_mask:0xf bank_mask:0xf// 00000001B628: 7E8602FA FF0108F9
	v_mov_b32_e32 v68, v248                                    // 00000001B630: 7E8803F8
	v_mov_b32_e32 v69, v249                                    // 00000001B634: 7E8A03F9
	v_cndmask_b32_e64 v248, v68, v64, s[42:43]                 // 00000001B638: D10000F8 00AA8144
	v_cndmask_b32_e64 v250, v68, v65, s[78:79]                 // 00000001B640: D10000FA 013A8344
	v_cndmask_b32_e64 v249, v69, v66, s[42:43]                 // 00000001B648: D10000F9 00AA8545
	v_cndmask_b32_e64 v251, v69, v67, s[78:79]                 // 00000001B650: D10000FB 013A8745
	v_mov_b32_dpp v64, v57 row_shr:4 row_mask:0xf bank_mask:0xf// 00000001B658: 7E8002FA FF011439
	v_mov_b32_dpp v65, v57 row_shl:4 row_mask:0xf bank_mask:0xf// 00000001B660: 7E8202FA FF010439
	v_cndmask_b32_e64 v252, v57, v64, s[44:45]                 // 00000001B668: D10000FC 00B28139
	v_cndmask_b32_e64 v253, v65, v57, s[44:45]                 // 00000001B670: D10000FD 00B27341
	v_mov_b32_dpp v64, v252 row_shr:8 row_mask:0xf bank_mask:0xf// 00000001B678: 7E8002FA FF0118FC
	v_mov_b32_dpp v65, v252 row_shl:8 row_mask:0xf bank_mask:0xf// 00000001B680: 7E8202FA FF0108FC
	v_mov_b32_dpp v66, v253 row_shr:8 row_mask:0xf bank_mask:0xf// 00000001B688: 7E8402FA FF0118FD
	v_mov_b32_dpp v67, v253 row_shl:8 row_mask:0xf bank_mask:0xf// 00000001B690: 7E8602FA FF0108FD
	v_mov_b32_e32 v68, v252                                    // 00000001B698: 7E8803FC
	v_mov_b32_e32 v69, v253                                    // 00000001B69C: 7E8A03FD
	v_cndmask_b32_e64 v252, v68, v64, s[42:43]                 // 00000001B6A0: D10000FC 00AA8144
	v_cndmask_b32_e64 v254, v68, v65, s[78:79]                 // 00000001B6A8: D10000FE 013A8344
	v_cndmask_b32_e64 v253, v69, v66, s[42:43]                 // 00000001B6B0: D10000FD 00AA8545
	v_cndmask_b32_e64 v255, v69, v67, s[78:79]                 // 00000001B6B8: D10000FF 013A8745
	v_mul_f32_e32 v160, v21, v160                              // 00000001B6C0: 0B414115
	v_mul_f32_e32 v161, v21, v161                              // 00000001B6C4: 0B434315
	v_mul_f32_e32 v162, v21, v162                              // 00000001B6C8: 0B454515
	v_mul_f32_e32 v163, v21, v163                              // 00000001B6CC: 0B474715
	v_mul_f32_e32 v164, v21, v164                              // 00000001B6D0: 0B494915
	v_mul_f32_e32 v165, v21, v165                              // 00000001B6D4: 0B4B4B15
	v_mul_f32_e32 v166, v21, v166                              // 00000001B6D8: 0B4D4D15
	v_mul_f32_e32 v167, v21, v167                              // 00000001B6DC: 0B4F4F15
	v_mul_f32_e32 v168, v21, v168                              // 00000001B6E0: 0B515115
	v_mul_f32_e32 v169, v21, v169                              // 00000001B6E4: 0B535315
	v_mul_f32_e32 v170, v21, v170                              // 00000001B6E8: 0B555515
	v_mul_f32_e32 v171, v21, v171                              // 00000001B6EC: 0B575715
	v_mul_f32_e32 v172, v21, v172                              // 00000001B6F0: 0B595915
	v_mul_f32_e32 v173, v21, v173                              // 00000001B6F4: 0B5B5B15
	v_mul_f32_e32 v174, v21, v174                              // 00000001B6F8: 0B5D5D15
	v_mul_f32_e32 v175, v21, v175                              // 00000001B6FC: 0B5F5F15
	v_mul_f32_dpp v160, v248, v160 quad_perm:[0,0,0,0] row_mask:0xf bank_mask:0xf// 00000001B700: 0B4140FA FF0000F8
	v_mul_f32_dpp v161, v248, v161 quad_perm:[1,1,1,1] row_mask:0xf bank_mask:0xf// 00000001B708: 0B4342FA FF0055F8
	v_mul_f32_dpp v162, v248, v162 quad_perm:[2,2,2,2] row_mask:0xf bank_mask:0xf// 00000001B710: 0B4544FA FF00AAF8
	v_mul_f32_dpp v163, v248, v163 quad_perm:[3,3,3,3] row_mask:0xf bank_mask:0xf// 00000001B718: 0B4746FA FF00FFF8
	v_mul_f32_dpp v164, v249, v164 quad_perm:[0,0,0,0] row_mask:0xf bank_mask:0xf// 00000001B720: 0B4948FA FF0000F9
	v_mul_f32_dpp v165, v249, v165 quad_perm:[1,1,1,1] row_mask:0xf bank_mask:0xf// 00000001B728: 0B4B4AFA FF0055F9
	v_mul_f32_dpp v166, v249, v166 quad_perm:[2,2,2,2] row_mask:0xf bank_mask:0xf// 00000001B730: 0B4D4CFA FF00AAF9
	v_mul_f32_dpp v167, v249, v167 quad_perm:[3,3,3,3] row_mask:0xf bank_mask:0xf// 00000001B738: 0B4F4EFA FF00FFF9
	v_mul_f32_dpp v168, v250, v168 quad_perm:[0,0,0,0] row_mask:0xf bank_mask:0xf// 00000001B740: 0B5150FA FF0000FA
	v_mul_f32_dpp v169, v250, v169 quad_perm:[1,1,1,1] row_mask:0xf bank_mask:0xf// 00000001B748: 0B5352FA FF0055FA
	v_mul_f32_dpp v170, v250, v170 quad_perm:[2,2,2,2] row_mask:0xf bank_mask:0xf// 00000001B750: 0B5554FA FF00AAFA
	v_mul_f32_dpp v171, v250, v171 quad_perm:[3,3,3,3] row_mask:0xf bank_mask:0xf// 00000001B758: 0B5756FA FF00FFFA
	v_mul_f32_dpp v172, v251, v172 quad_perm:[0,0,0,0] row_mask:0xf bank_mask:0xf// 00000001B760: 0B5958FA FF0000FB
	v_mul_f32_dpp v173, v251, v173 quad_perm:[1,1,1,1] row_mask:0xf bank_mask:0xf// 00000001B768: 0B5B5AFA FF0055FB
	v_mul_f32_dpp v174, v251, v174 quad_perm:[2,2,2,2] row_mask:0xf bank_mask:0xf// 00000001B770: 0B5D5CFA FF00AAFB
	v_mul_f32_dpp v175, v251, v175 quad_perm:[3,3,3,3] row_mask:0xf bank_mask:0xf// 00000001B778: 0B5F5EFA FF00FFFB
	v_mov_b32_e32 v48, v160                                    // 00000001B780: 7E6003A0
	v_max3_f32 v48, v160, v161, v48                            // 00000001B784: D1D30030 04C343A0
	v_max3_f32 v48, v162, v163, v48                            // 00000001B78C: D1D30030 04C347A2
	v_max3_f32 v48, v164, v165, v48                            // 00000001B794: D1D30030 04C34BA4
	v_max3_f32 v48, v166, v167, v48                            // 00000001B79C: D1D30030 04C34FA6
	v_max3_f32 v48, v168, v169, v48                            // 00000001B7A4: D1D30030 04C353A8
	v_max3_f32 v48, v170, v171, v48                            // 00000001B7AC: D1D30030 04C357AA
	v_max3_f32 v48, v172, v173, v48                            // 00000001B7B4: D1D30030 04C35BAC
	v_max3_f32 v48, v174, v175, v48                            // 00000001B7BC: D1D30030 04C35FAE
	ds_write_b32 v8, v48 offset:16896                          // 00000001B7C4: D81A4200 00003008
	v_mul_f32_e32 v232, v52, v232                              // 00000001B7CC: 0BD1D134
	v_mul_f32_e32 v233, v52, v233                              // 00000001B7D0: 0BD3D334
	v_mul_f32_e32 v234, v52, v234                              // 00000001B7D4: 0BD5D534
	v_mul_f32_e32 v235, v52, v235                              // 00000001B7D8: 0BD7D734
	v_mul_f32_e32 v236, v52, v236                              // 00000001B7DC: 0BD9D934
	v_mul_f32_e32 v237, v52, v237                              // 00000001B7E0: 0BDBDB34
	v_mul_f32_e32 v238, v52, v238                              // 00000001B7E4: 0BDDDD34
	v_mul_f32_e32 v239, v52, v239                              // 00000001B7E8: 0BDFDF34
	s_waitcnt lgkmcnt(0)                                       // 00000001B7EC: BF8CC07F
	s_barrier                                                  // 00000001B7F0: BF8A0000
	ds_read_b32 v64, v7 offset:16896                           // 00000001B7F4: D86C4200 40000007
	ds_read_b32 v65, v7 offset:16960                           // 00000001B7FC: D86C4240 41000007
	ds_read_b32 v66, v7 offset:17024                           // 00000001B804: D86C4280 42000007
	ds_read_b32 v67, v7 offset:17088                           // 00000001B80C: D86C42C0 43000007
	ds_read_b32 v68, v7 offset:17152                           // 00000001B814: D86C4300 44000007
	ds_read_b32 v69, v7 offset:17216                           // 00000001B81C: D86C4340 45000007
	ds_read_b32 v70, v7 offset:17280                           // 00000001B824: D86C4380 46000007
	ds_read_b32 v71, v7 offset:17344                           // 00000001B82C: D86C43C0 47000007
	ds_read_b32 v72, v7 offset:17408                           // 00000001B834: D86C4400 48000007
	ds_read_b32 v73, v7 offset:17472                           // 00000001B83C: D86C4440 49000007
	ds_read_b32 v74, v7 offset:17536                           // 00000001B844: D86C4480 4A000007
	ds_read_b32 v75, v7 offset:17600                           // 00000001B84C: D86C44C0 4B000007
	ds_read_b32 v76, v7 offset:17664                           // 00000001B854: D86C4500 4C000007
	ds_read_b32 v77, v7 offset:17728                           // 00000001B85C: D86C4540 4D000007
	ds_read_b32 v78, v7 offset:17792                           // 00000001B864: D86C4580 4E000007
	ds_read_b32 v79, v7 offset:17856                           // 00000001B86C: D86C45C0 4F000007
	v_mul_f32_e32 v200, v47, v200                              // 00000001B874: 0B91912F
	v_mul_f32_e32 v201, v47, v201                              // 00000001B878: 0B93932F
	v_mul_f32_e32 v202, v47, v202                              // 00000001B87C: 0B95952F
	v_mul_f32_e32 v203, v47, v203                              // 00000001B880: 0B97972F
	v_mul_f32_e32 v204, v47, v204                              // 00000001B884: 0B99992F
	v_mul_f32_e32 v205, v47, v205                              // 00000001B888: 0B9B9B2F
	v_mul_f32_e32 v206, v47, v206                              // 00000001B88C: 0B9D9D2F
	v_mul_f32_e32 v207, v47, v207                              // 00000001B890: 0B9F9F2F
	s_waitcnt lgkmcnt(0)                                       // 00000001B894: BF8CC07F
	v_max3_f32 v48, v64, v65, v48                              // 00000001B898: D1D30030 04C28340
	v_max3_f32 v48, v66, v67, v48                              // 00000001B8A0: D1D30030 04C28742
	v_max3_f32 v48, v68, v69, v48                              // 00000001B8A8: D1D30030 04C28B44
	v_max3_f32 v48, v70, v71, v48                              // 00000001B8B0: D1D30030 04C28F46
	v_max3_f32 v48, v72, v73, v48                              // 00000001B8B8: D1D30030 04C29348
	v_max3_f32 v48, v74, v75, v48                              // 00000001B8C0: D1D30030 04C2974A
	v_max3_f32 v48, v76, v77, v48                              // 00000001B8C8: D1D30030 04C29B4C
	v_max3_f32 v48, v78, v79, v48                              // 00000001B8D0: D1D30030 04C29F4E
	v_mov_b32_e32 v64, 0xff800000                              // 00000001B8D8: 7E8002FF FF800000
	v_cmp_eq_u32_e64 s[40:41], v64, v14                        // 00000001B8E0: D0CA0028 00021D40
	s_nop 1                                                    // 00000001B8E8: BF800001
	v_max_f32_e32 v15, v48, v14                                // 00000001B8EC: 161E1D30
	v_mul_f32_e32 v53, s64, v15                                // 00000001B8F0: 0A6A1E40
	v_fma_f32 v160, v160, s64, -v53                            // 00000001B8F4: D1CB00A0 84D481A0
	v_fma_f32 v161, v161, s64, -v53                            // 00000001B8FC: D1CB00A1 84D481A1
	v_fma_f32 v162, v162, s64, -v53                            // 00000001B904: D1CB00A2 84D481A2
	v_fma_f32 v163, v163, s64, -v53                            // 00000001B90C: D1CB00A3 84D481A3
	v_fma_f32 v164, v164, s64, -v53                            // 00000001B914: D1CB00A4 84D481A4
	v_fma_f32 v165, v165, s64, -v53                            // 00000001B91C: D1CB00A5 84D481A5
	v_fma_f32 v166, v166, s64, -v53                            // 00000001B924: D1CB00A6 84D481A6
	v_fma_f32 v167, v167, s64, -v53                            // 00000001B92C: D1CB00A7 84D481A7
	v_fma_f32 v168, v168, s64, -v53                            // 00000001B934: D1CB00A8 84D481A8
	v_fma_f32 v169, v169, s64, -v53                            // 00000001B93C: D1CB00A9 84D481A9
	v_fma_f32 v170, v170, s64, -v53                            // 00000001B944: D1CB00AA 84D481AA
	v_fma_f32 v171, v171, s64, -v53                            // 00000001B94C: D1CB00AB 84D481AB
	v_fma_f32 v172, v172, s64, -v53                            // 00000001B954: D1CB00AC 84D481AC
	v_fma_f32 v173, v173, s64, -v53                            // 00000001B95C: D1CB00AD 84D481AD
	v_fma_f32 v174, v174, s64, -v53                            // 00000001B964: D1CB00AE 84D481AE
	v_fma_f32 v175, v175, s64, -v53                            // 00000001B96C: D1CB00AF 84D481AF
	v_exp_f32_e32 v160, v160                                   // 00000001B974: 7F4041A0
	v_exp_f32_e32 v161, v161                                   // 00000001B978: 7F4241A1
	v_exp_f32_e32 v162, v162                                   // 00000001B97C: 7F4441A2
	v_exp_f32_e32 v163, v163                                   // 00000001B980: 7F4641A3
	v_exp_f32_e32 v164, v164                                   // 00000001B984: 7F4841A4
	v_exp_f32_e32 v165, v165                                   // 00000001B988: 7F4A41A5
	v_exp_f32_e32 v166, v166                                   // 00000001B98C: 7F4C41A6
	v_exp_f32_e32 v167, v167                                   // 00000001B990: 7F4E41A7
	v_exp_f32_e32 v168, v168                                   // 00000001B994: 7F5041A8
	v_exp_f32_e32 v169, v169                                   // 00000001B998: 7F5241A9
	v_exp_f32_e32 v170, v170                                   // 00000001B99C: 7F5441AA
	v_exp_f32_e32 v171, v171                                   // 00000001B9A0: 7F5641AB
	v_exp_f32_e32 v172, v172                                   // 00000001B9A4: 7F5841AC
	v_exp_f32_e32 v173, v173                                   // 00000001B9A8: 7F5A41AD
	v_exp_f32_e32 v174, v174                                   // 00000001B9AC: 7F5C41AE
	v_exp_f32_e32 v175, v175                                   // 00000001B9B0: 7F5E41AF
	v_mul_f32_dpp v240, v252, v160 quad_perm:[0,0,0,0] row_mask:0xf bank_mask:0xf// 00000001B9B4: 0BE140FA FF0000FC
	v_mul_f32_dpp v241, v252, v161 quad_perm:[1,1,1,1] row_mask:0xf bank_mask:0xf// 00000001B9BC: 0BE342FA FF0055FC
	v_mul_f32_dpp v242, v252, v162 quad_perm:[2,2,2,2] row_mask:0xf bank_mask:0xf// 00000001B9C4: 0BE544FA FF00AAFC
	v_mul_f32_dpp v243, v252, v163 quad_perm:[3,3,3,3] row_mask:0xf bank_mask:0xf// 00000001B9CC: 0BE746FA FF00FFFC
	v_mul_f32_dpp v244, v253, v164 quad_perm:[0,0,0,0] row_mask:0xf bank_mask:0xf// 00000001B9D4: 0BE948FA FF0000FD
	v_mul_f32_dpp v245, v253, v165 quad_perm:[1,1,1,1] row_mask:0xf bank_mask:0xf// 00000001B9DC: 0BEB4AFA FF0055FD
	v_mul_f32_dpp v246, v253, v166 quad_perm:[2,2,2,2] row_mask:0xf bank_mask:0xf// 00000001B9E4: 0BED4CFA FF00AAFD
	v_mul_f32_dpp v247, v253, v167 quad_perm:[3,3,3,3] row_mask:0xf bank_mask:0xf// 00000001B9EC: 0BEF4EFA FF00FFFD
	v_mul_f32_dpp v248, v254, v168 quad_perm:[0,0,0,0] row_mask:0xf bank_mask:0xf// 00000001B9F4: 0BF150FA FF0000FE
	v_mul_f32_dpp v249, v254, v169 quad_perm:[1,1,1,1] row_mask:0xf bank_mask:0xf// 00000001B9FC: 0BF352FA FF0055FE
	v_mul_f32_dpp v250, v254, v170 quad_perm:[2,2,2,2] row_mask:0xf bank_mask:0xf// 00000001BA04: 0BF554FA FF00AAFE
	v_mul_f32_dpp v251, v254, v171 quad_perm:[3,3,3,3] row_mask:0xf bank_mask:0xf// 00000001BA0C: 0BF756FA FF00FFFE
	v_mul_f32_dpp v252, v255, v172 quad_perm:[0,0,0,0] row_mask:0xf bank_mask:0xf// 00000001BA14: 0BF958FA FF0000FF
	v_mul_f32_dpp v253, v255, v173 quad_perm:[1,1,1,1] row_mask:0xf bank_mask:0xf// 00000001BA1C: 0BFB5AFA FF0055FF
	v_mul_f32_dpp v254, v255, v174 quad_perm:[2,2,2,2] row_mask:0xf bank_mask:0xf// 00000001BA24: 0BFD5CFA FF00AAFF
	v_mul_f32_dpp v255, v255, v175 quad_perm:[3,3,3,3] row_mask:0xf bank_mask:0xf// 00000001BA2C: 0BFF5EFA FF00FFFF
	v_mov_b32_e32 v48, 0x358637bd                              // 00000001BA34: 7E6002FF 358637BD
	v_max3_f32 v48, |v240|, |v241|, v48                        // 00000001BA3C: D1D30330 04C3E3F0
	v_max3_f32 v48, |v242|, |v243|, v48                        // 00000001BA44: D1D30330 04C3E7F2
	v_max3_f32 v48, |v244|, |v245|, v48                        // 00000001BA4C: D1D30330 04C3EBF4
	v_max3_f32 v48, |v246|, |v247|, v48                        // 00000001BA54: D1D30330 04C3EFF6
	v_max3_f32 v48, |v248|, |v249|, v48                        // 00000001BA5C: D1D30330 04C3F3F8
	v_max3_f32 v48, |v250|, |v251|, v48                        // 00000001BA64: D1D30330 04C3F7FA
	v_max3_f32 v48, |v252|, |v253|, v48                        // 00000001BA6C: D1D30330 04C3FBFC
	v_max3_f32 v48, |v254|, |v255|, v48                        // 00000001BA74: D1D30330 04C3FFFE
	ds_write_b32 v8, v48 offset:20992                          // 00000001BA7C: D81A5200 00003008
	v_sub_f32_e32 v52, v14, v15                                // 00000001BA84: 04681F0E
	v_cndmask_b32_e64 v52, v52, 0, s[40:41]                    // 00000001BA88: D1000034 00A10134
	v_mov_b32_e32 v14, v15                                     // 00000001BA90: 7E1C030F
	v_mul_f32_e32 v52, s64, v52                                // 00000001BA94: 0A686840
	v_exp_f32_e32 v52, v52                                     // 00000001BA98: 7E684134
	s_waitcnt lgkmcnt(0)                                       // 00000001BA9C: BF8CC07F
	s_barrier                                                  // 00000001BAA0: BF8A0000
	ds_read_b32 v64, v7 offset:20992                           // 00000001BAA4: D86C5200 40000007
	ds_read_b32 v65, v7 offset:21056                           // 00000001BAAC: D86C5240 41000007
	ds_read_b32 v66, v7 offset:21120                           // 00000001BAB4: D86C5280 42000007
	ds_read_b32 v67, v7 offset:21184                           // 00000001BABC: D86C52C0 43000007
	ds_read_b32 v68, v7 offset:21248                           // 00000001BAC4: D86C5300 44000007
	ds_read_b32 v69, v7 offset:21312                           // 00000001BACC: D86C5340 45000007
	ds_read_b32 v70, v7 offset:21376                           // 00000001BAD4: D86C5380 46000007
	ds_read_b32 v71, v7 offset:21440                           // 00000001BADC: D86C53C0 47000007
	ds_read_b32 v72, v7 offset:21504                           // 00000001BAE4: D86C5400 48000007
	ds_read_b32 v73, v7 offset:21568                           // 00000001BAEC: D86C5440 49000007
	ds_read_b32 v74, v7 offset:21632                           // 00000001BAF4: D86C5480 4A000007
	ds_read_b32 v75, v7 offset:21696                           // 00000001BAFC: D86C54C0 4B000007
	ds_read_b32 v76, v7 offset:21760                           // 00000001BB04: D86C5500 4C000007
	ds_read_b32 v77, v7 offset:21824                           // 00000001BB0C: D86C5540 4D000007
	ds_read_b32 v78, v7 offset:21888                           // 00000001BB14: D86C5580 4E000007
	ds_read_b32 v79, v7 offset:21952                           // 00000001BB1C: D86C55C0 4F000007
	v_mul_f32_e32 v41, v52, v41                                // 00000001BB24: 0A525334
	v_mov_b32_e32 v15, v160                                    // 00000001BB28: 7E1E03A0
	v_add_f32_e32 v15, v161, v15                               // 00000001BB2C: 021E1FA1
	v_add_f32_e32 v15, v162, v15                               // 00000001BB30: 021E1FA2
	v_add_f32_e32 v15, v163, v15                               // 00000001BB34: 021E1FA3
	v_add_f32_e32 v15, v164, v15                               // 00000001BB38: 021E1FA4
	v_add_f32_e32 v15, v165, v15                               // 00000001BB3C: 021E1FA5
	v_add_f32_e32 v15, v166, v15                               // 00000001BB40: 021E1FA6
	v_add_f32_e32 v15, v167, v15                               // 00000001BB44: 021E1FA7
	v_add_f32_e32 v15, v168, v15                               // 00000001BB48: 021E1FA8
	v_add_f32_e32 v15, v169, v15                               // 00000001BB4C: 021E1FA9
	v_add_f32_e32 v15, v170, v15                               // 00000001BB50: 021E1FAA
	v_add_f32_e32 v15, v171, v15                               // 00000001BB54: 021E1FAB
	v_add_f32_e32 v15, v172, v15                               // 00000001BB58: 021E1FAC
	v_add_f32_e32 v15, v173, v15                               // 00000001BB5C: 021E1FAD
	v_add_f32_e32 v15, v174, v15                               // 00000001BB60: 021E1FAE
	v_add_f32_e32 v15, v175, v15                               // 00000001BB64: 021E1FAF
	v_add_f32_e32 v41, v15, v41                                // 00000001BB68: 0252530F
	s_waitcnt lgkmcnt(0)                                       // 00000001BB6C: BF8CC07F
	v_max3_f32 v48, |v64|, |v65|, v48                          // 00000001BB70: D1D30330 04C28340
	v_max3_f32 v48, |v66|, |v67|, v48                          // 00000001BB78: D1D30330 04C28742
	v_max3_f32 v48, |v68|, |v69|, v48                          // 00000001BB80: D1D30330 04C28B44
	v_max3_f32 v48, |v70|, |v71|, v48                          // 00000001BB88: D1D30330 04C28F46
	v_max3_f32 v48, |v72|, |v73|, v48                          // 00000001BB90: D1D30330 04C29348
	v_max3_f32 v48, |v74|, |v75|, v48                          // 00000001BB98: D1D30330 04C2974A
	v_max3_f32 v48, |v76|, |v77|, v48                          // 00000001BBA0: D1D30330 04C29B4C
	v_max3_f32 v48, |v78|, |v79|, v48                          // 00000001BBA8: D1D30330 04C29F4E
	s_nop 2                                                    // 00000001BBB0: BF800002
	v_rcp_f32_e32 v48, v48                                     // 00000001BBB4: 7E604530
	s_nop 1                                                    // 00000001BBB8: BF800001
	v_mul_f32_e32 v48, 0x43e00000, v48                         // 00000001BBBC: 0A6060FF 43E00000
	v_mul_f32_e32 v160, v48, v240                              // 00000001BBC4: 0B41E130
	v_mul_f32_e32 v161, v48, v241                              // 00000001BBC8: 0B43E330
	v_mul_f32_e32 v162, v48, v242                              // 00000001BBCC: 0B45E530
	v_mul_f32_e32 v163, v48, v243                              // 00000001BBD0: 0B47E730
	v_mul_f32_e32 v164, v48, v244                              // 00000001BBD4: 0B49E930
	v_mul_f32_e32 v165, v48, v245                              // 00000001BBD8: 0B4BEB30
	v_mul_f32_e32 v166, v48, v246                              // 00000001BBDC: 0B4DED30
	v_mul_f32_e32 v167, v48, v247                              // 00000001BBE0: 0B4FEF30
	v_mul_f32_e32 v168, v48, v248                              // 00000001BBE4: 0B51F130
	v_mul_f32_e32 v169, v48, v249                              // 00000001BBE8: 0B53F330
	v_mul_f32_e32 v170, v48, v250                              // 00000001BBEC: 0B55F530
	v_mul_f32_e32 v171, v48, v251                              // 00000001BBF0: 0B57F730
	v_mul_f32_e32 v172, v48, v252                              // 00000001BBF4: 0B59F930
	v_mul_f32_e32 v173, v48, v253                              // 00000001BBF8: 0B5BFB30
	v_mul_f32_e32 v174, v48, v254                              // 00000001BBFC: 0B5DFD30
	v_mul_f32_e32 v175, v48, v255                              // 00000001BC00: 0B5FFF30
	v_cvt_pk_fp8_f32 v160, v160, v161                          // 00000001BC04: D2A200A0 000343A0
	v_cvt_pk_fp8_f32 v160, v162, v163 op_sel:[0,0,1]           // 00000001BC0C: D2A240A0 000347A2
	v_cvt_pk_fp8_f32 v161, v164, v165                          // 00000001BC14: D2A200A1 00034BA4
	v_cvt_pk_fp8_f32 v161, v166, v167 op_sel:[0,0,1]           // 00000001BC1C: D2A240A1 00034FA6
	v_cvt_pk_fp8_f32 v162, v168, v169                          // 00000001BC24: D2A200A2 000353A8
	v_cvt_pk_fp8_f32 v162, v170, v171 op_sel:[0,0,1]           // 00000001BC2C: D2A240A2 000357AA
	v_cvt_pk_fp8_f32 v163, v172, v173                          // 00000001BC34: D2A200A3 00035BAC
	v_cvt_pk_fp8_f32 v163, v174, v175 op_sel:[0,0,1]           // 00000001BC3C: D2A240A3 00035FAE
	ds_write_b32 v10, v160 offset:37376                        // 00000001BC44: D81A9200 0000A00A
	ds_write_b32 v10, v161 offset:38400                        // 00000001BC4C: D81A9600 0000A10A
	ds_write_b32 v10, v162 offset:39424                        // 00000001BC54: D81A9A00 0000A20A
	ds_write_b32 v10, v163 offset:40448                        // 00000001BC5C: D81A9E00 0000A30A
	v_add_f32_e32 v232, v232, v200                             // 00000001BC64: 03D191E8
	v_add_f32_e32 v233, v233, v201                             // 00000001BC68: 03D393E9
	v_add_f32_e32 v234, v234, v202                             // 00000001BC6C: 03D595EA
	v_add_f32_e32 v235, v235, v203                             // 00000001BC70: 03D797EB
	v_add_f32_e32 v236, v236, v204                             // 00000001BC74: 03D999EC
	v_add_f32_e32 v237, v237, v205                             // 00000001BC78: 03DB9BED
	v_add_f32_e32 v238, v238, v206                             // 00000001BC7C: 03DD9DEE
	v_add_f32_e32 v239, v239, v207                             // 00000001BC80: 03DF9FEF
	v_rcp_f32_e32 v47, v48                                     // 00000001BC84: 7E5E4530
	s_waitcnt lgkmcnt(0)                                       // 00000001BC88: BF8CC07F
	s_barrier                                                  // 00000001BC8C: BF8A0000
	ds_read_b64 v[160:161], v9 offset:37376                    // 00000001BC90: D8EC9200 A0000009
	ds_read_b64 v[162:163], v9 offset:37504                    // 00000001BC98: D8EC9280 A2000009
	ds_read_b64 v[164:165], v9 offset:38400                    // 00000001BCA0: D8EC9600 A4000009
	ds_read_b64 v[166:167], v9 offset:38528                    // 00000001BCA8: D8EC9680 A6000009
	ds_read_b64 v[168:169], v9 offset:39424                    // 00000001BCB0: D8EC9A00 A8000009
	ds_read_b64 v[170:171], v9 offset:39552                    // 00000001BCB8: D8EC9A80 AA000009
	ds_read_b64 v[172:173], v9 offset:40448                    // 00000001BCC0: D8EC9E00 AC000009
	ds_read_b64 v[174:175], v9 offset:40576                    // 00000001BCC8: D8EC9E80 AE000009
	s_waitcnt vmcnt(15)                                        // 00000001BCD0: BF8C0F7F
	v_mfma_f32_16x16x32_fp8_fp8 v[176:179], a[64:65], v[112:113], 0// 00000001BCD4: D3F300B0 0A02E140
	v_mfma_f32_16x16x32_fp8_fp8 v[176:179], a[66:67], v[114:115], v[176:179]// 00000001BCDC: D3F300B0 0EC2E542
	buffer_load_dwordx4 a[112:115], v34, s[20:23], 0 offen offset:1024// 00000001BCE4: E05C1400 80857022
	v_mfma_f32_16x16x32_fp8_fp8 v[176:179], a[68:69], v[116:117], v[176:179]// 00000001BCEC: D3F300B0 0EC2E944
	v_mfma_f32_16x16x32_fp8_fp8 v[176:179], a[70:71], v[118:119], v[176:179]// 00000001BCF4: D3F300B0 0EC2ED46
	v_mfma_f32_16x16x32_fp8_fp8 v[176:179], a[72:73], v[120:121], v[176:179]// 00000001BCFC: D3F300B0 0EC2F148
	v_mfma_f32_16x16x32_fp8_fp8 v[176:179], a[74:75], v[122:123], v[176:179]// 00000001BD04: D3F300B0 0EC2F54A
	buffer_load_dwordx4 a[116:119], v35, s[20:23], 0 offen offset:1024// 00000001BD0C: E05C1400 80857423
	v_mfma_f32_16x16x32_fp8_fp8 v[176:179], a[76:77], v[124:125], v[176:179]// 00000001BD14: D3F300B0 0EC2F94C
	v_mfma_f32_16x16x32_fp8_fp8 v[176:179], a[78:79], v[126:127], v[176:179]// 00000001BD1C: D3F300B0 0EC2FD4E
	v_mfma_f32_16x16x32_fp8_fp8 v[180:183], a[80:81], v[112:113], 0// 00000001BD24: D3F300B4 0A02E150
	v_mfma_f32_16x16x32_fp8_fp8 v[180:183], a[82:83], v[114:115], v[180:183]// 00000001BD2C: D3F300B4 0ED2E552
	buffer_load_dwordx4 a[120:123], v36, s[20:23], 0 offen offset:1024// 00000001BD34: E05C1400 80857824
	v_mfma_f32_16x16x32_fp8_fp8 v[180:183], a[84:85], v[116:117], v[180:183]// 00000001BD3C: D3F300B4 0ED2E954
	v_mfma_f32_16x16x32_fp8_fp8 v[180:183], a[86:87], v[118:119], v[180:183]// 00000001BD44: D3F300B4 0ED2ED56
	v_mfma_f32_16x16x32_fp8_fp8 v[180:183], a[88:89], v[120:121], v[180:183]// 00000001BD4C: D3F300B4 0ED2F158
	v_mfma_f32_16x16x32_fp8_fp8 v[180:183], a[90:91], v[122:123], v[180:183]// 00000001BD54: D3F300B4 0ED2F55A
	buffer_load_dwordx4 a[124:127], v37, s[20:23], 0 offen offset:1024// 00000001BD5C: E05C1400 80857C25
	v_mfma_f32_16x16x32_fp8_fp8 v[180:183], a[92:93], v[124:125], v[180:183]// 00000001BD64: D3F300B4 0ED2F95C
	s_lshr_b32 s57, s70, 4                                     // 00000001BD6C: 8F398446
	s_add_u32 s57, 48, s57                                     // 00000001BD70: 803939B0
	v_mfma_f32_16x16x32_fp8_fp8 v[180:183], a[94:95], v[126:127], v[180:183]// 00000001BD74: D3F300B4 0ED2FD5E
	s_cmp_ge_u32 s57, s73                                      // 00000001BD7C: BF094939
	s_cselect_b32 s56, 0, s56                                  // 00000001BD80: 85383880
	v_mfma_f32_16x16x32_fp8_fp8 v[184:187], a[64:65], v[128:129], 0// 00000001BD84: D3F300B8 0A030140
	v_mfma_f32_16x16x32_fp8_fp8 v[184:187], a[66:67], v[130:131], v[184:187]// 00000001BD8C: D3F300B8 0EE30542
	v_mfma_f32_16x16x32_fp8_fp8 v[184:187], a[68:69], v[132:133], v[184:187]// 00000001BD94: D3F300B8 0EE30944
	v_mfma_f32_16x16x32_fp8_fp8 v[184:187], a[70:71], v[134:135], v[184:187]// 00000001BD9C: D3F300B8 0EE30D46
	v_mfma_f32_16x16x32_fp8_fp8 v[184:187], a[72:73], v[136:137], v[184:187]// 00000001BDA4: D3F300B8 0EE31148
	v_mfma_f32_16x16x32_fp8_fp8 v[184:187], a[74:75], v[138:139], v[184:187]// 00000001BDAC: D3F300B8 0EE3154A
	v_mfma_f32_16x16x32_fp8_fp8 v[184:187], a[76:77], v[140:141], v[184:187]// 00000001BDB4: D3F300B8 0EE3194C
	v_mfma_f32_16x16x32_fp8_fp8 v[184:187], a[78:79], v[142:143], v[184:187]// 00000001BDBC: D3F300B8 0EE31D4E
	v_mfma_f32_16x16x32_fp8_fp8 v[188:191], a[80:81], v[128:129], 0// 00000001BDC4: D3F300BC 0A030150
	v_mfma_f32_16x16x32_fp8_fp8 v[188:191], a[82:83], v[130:131], v[188:191]// 00000001BDCC: D3F300BC 0EF30552
	v_mfma_f32_16x16x32_fp8_fp8 v[188:191], a[84:85], v[132:133], v[188:191]// 00000001BDD4: D3F300BC 0EF30954
	v_mfma_f32_16x16x32_fp8_fp8 v[188:191], a[86:87], v[134:135], v[188:191]// 00000001BDDC: D3F300BC 0EF30D56
	v_mfma_f32_16x16x32_fp8_fp8 v[188:191], a[88:89], v[136:137], v[188:191]// 00000001BDE4: D3F300BC 0EF31158
	v_mfma_f32_16x16x32_fp8_fp8 v[188:191], a[90:91], v[138:139], v[188:191]// 00000001BDEC: D3F300BC 0EF3155A
	v_mfma_f32_16x16x32_fp8_fp8 v[188:191], a[92:93], v[140:141], v[188:191]// 00000001BDF4: D3F300BC 0EF3195C
	v_mfma_f32_16x16x32_fp8_fp8 v[188:191], a[94:95], v[142:143], v[188:191]// 00000001BDFC: D3F300BC 0EF31D5E
	v_mfma_f32_16x16x32_fp8_fp8 v[192:195], a[64:65], v[144:145], 0// 00000001BE04: D3F300C0 0A032140
	v_mfma_f32_16x16x32_fp8_fp8 v[192:195], a[66:67], v[146:147], v[192:195]// 00000001BE0C: D3F300C0 0F032542
	v_mfma_f32_16x16x32_fp8_fp8 v[192:195], a[68:69], v[148:149], v[192:195]// 00000001BE14: D3F300C0 0F032944
	v_mfma_f32_16x16x32_fp8_fp8 v[192:195], a[70:71], v[150:151], v[192:195]// 00000001BE1C: D3F300C0 0F032D46
	v_mfma_f32_16x16x32_fp8_fp8 v[192:195], a[72:73], v[152:153], v[192:195]// 00000001BE24: D3F300C0 0F033148
	v_mfma_f32_16x16x32_fp8_fp8 v[192:195], a[74:75], v[154:155], v[192:195]// 00000001BE2C: D3F300C0 0F03354A
	v_mfma_f32_16x16x32_fp8_fp8 v[192:195], a[76:77], v[156:157], v[192:195]// 00000001BE34: D3F300C0 0F03394C
	v_mfma_f32_16x16x32_fp8_fp8 v[192:195], a[78:79], v[158:159], v[192:195]// 00000001BE3C: D3F300C0 0F033D4E
	v_mfma_f32_16x16x32_fp8_fp8 v[196:199], a[80:81], v[144:145], 0// 00000001BE44: D3F300C4 0A032150
	v_mfma_f32_16x16x32_fp8_fp8 v[196:199], a[82:83], v[146:147], v[196:199]// 00000001BE4C: D3F300C4 0F132552
	v_mfma_f32_16x16x32_fp8_fp8 v[196:199], a[84:85], v[148:149], v[196:199]// 00000001BE54: D3F300C4 0F132954
	v_mfma_f32_16x16x32_fp8_fp8 v[196:199], a[86:87], v[150:151], v[196:199]// 00000001BE5C: D3F300C4 0F132D56
	v_mfma_f32_16x16x32_fp8_fp8 v[196:199], a[88:89], v[152:153], v[196:199]// 00000001BE64: D3F300C4 0F133158
	v_mfma_f32_16x16x32_fp8_fp8 v[196:199], a[90:91], v[154:155], v[196:199]// 00000001BE6C: D3F300C4 0F13355A
	v_mfma_f32_16x16x32_fp8_fp8 v[196:199], a[92:93], v[156:157], v[196:199]// 00000001BE74: D3F300C4 0F13395C
	v_mfma_f32_16x16x32_fp8_fp8 v[196:199], a[94:95], v[158:159], v[196:199]// 00000001BE7C: D3F300C4 0F133D5E
	v_mfma_f32_16x16x32_fp8_fp8 v[200:203], a[64:65], v[160:161], 0// 00000001BE84: D3F300C8 0A034140
	v_mfma_f32_16x16x32_fp8_fp8 v[200:203], a[66:67], v[162:163], v[200:203]// 00000001BE8C: D3F300C8 0F234542
	v_mfma_f32_16x16x32_fp8_fp8 v[200:203], a[68:69], v[164:165], v[200:203]// 00000001BE94: D3F300C8 0F234944
	v_mfma_f32_16x16x32_fp8_fp8 v[200:203], a[70:71], v[166:167], v[200:203]// 00000001BE9C: D3F300C8 0F234D46
	v_mfma_f32_16x16x32_fp8_fp8 v[200:203], a[72:73], v[168:169], v[200:203]// 00000001BEA4: D3F300C8 0F235148
	v_mfma_f32_16x16x32_fp8_fp8 v[200:203], a[74:75], v[170:171], v[200:203]// 00000001BEAC: D3F300C8 0F23554A
	v_mfma_f32_16x16x32_fp8_fp8 v[200:203], a[76:77], v[172:173], v[200:203]// 00000001BEB4: D3F300C8 0F23594C
	v_mfma_f32_16x16x32_fp8_fp8 v[200:203], a[78:79], v[174:175], v[200:203]// 00000001BEBC: D3F300C8 0F235D4E
	v_mfma_f32_16x16x32_fp8_fp8 v[204:207], a[80:81], v[160:161], 0// 00000001BEC4: D3F300CC 0A034150
	v_mfma_f32_16x16x32_fp8_fp8 v[204:207], a[82:83], v[162:163], v[204:207]// 00000001BECC: D3F300CC 0F334552
	v_mfma_f32_16x16x32_fp8_fp8 v[204:207], a[84:85], v[164:165], v[204:207]// 00000001BED4: D3F300CC 0F334954
	v_mfma_f32_16x16x32_fp8_fp8 v[204:207], a[86:87], v[166:167], v[204:207]// 00000001BEDC: D3F300CC 0F334D56
	v_mfma_f32_16x16x32_fp8_fp8 v[204:207], a[88:89], v[168:169], v[204:207]// 00000001BEE4: D3F300CC 0F335158
	v_mfma_f32_16x16x32_fp8_fp8 v[204:207], a[90:91], v[170:171], v[204:207]// 00000001BEEC: D3F300CC 0F33555A
	v_mfma_f32_16x16x32_fp8_fp8 v[204:207], a[92:93], v[172:173], v[204:207]// 00000001BEF4: D3F300CC 0F33595C
	v_mfma_f32_16x16x32_fp8_fp8 v[204:207], a[94:95], v[174:175], v[204:207]// 00000001BEFC: D3F300CC 0F335D5E
	v_add_u32_e32 v1, s56, v1                                  // 00000001BF04: 68020238
	s_addk_i32 s70, 0x100                                      // 00000001BF08: B7460100
	s_cmp_lt_i32 s70, s71                                      // 00000001BF0C: BF044746
	s_cbranch_scc0 label_6F74                                  // 00000001BF10: BF84082F
	s_waitcnt vmcnt(8) lgkmcnt(0)                              // 00000001BF14: BF8C0078
	v_mul_u32_u24_dpp v64, v16, v54 row_newbcast:0 row_mask:0xf bank_mask:0xf// 00000001BF18: 10806CFA FF015010
	v_mul_u32_u24_dpp v65, v16, v54 row_newbcast:4 row_mask:0xf bank_mask:0xf// 00000001BF20: 10826CFA FF015410
	v_mul_u32_u24_dpp v66, v16, v54 row_newbcast:8 row_mask:0xf bank_mask:0xf// 00000001BF28: 10846CFA FF015810
	v_mul_u32_u24_dpp v67, v16, v54 row_newbcast:12 row_mask:0xf bank_mask:0xf// 00000001BF30: 10866CFA FF015C10
	v_add_u32_e32 v22, v64, v5                                 // 00000001BF38: 682C0B40
	v_add_u32_e32 v23, v65, v5                                 // 00000001BF3C: 682E0B41
	v_add_u32_e32 v24, v66, v5                                 // 00000001BF40: 68300B42
	v_add_u32_e32 v25, v67, v5                                 // 00000001BF44: 68320B43
	v_mul_u32_u24_dpp v64, v16, v63 quad_perm:[0,0,0,0] row_mask:0xf bank_mask:0xf// 00000001BF48: 10807EFA FF000010
	v_add_u32_e32 v2, v64, v59                                 // 00000001BF50: 68047740
	v_mul_u32_u24_dpp v64, v16, v63 quad_perm:[0,0,0,0] row_mask:0xf bank_mask:0xf// 00000001BF54: 10807EFA FF000010
	v_add_u32_e32 v55, v64, v60                                // 00000001BF5C: 686E7940
	v_mfma_f32_16x16x32_fp8_fp8 v[112:115], a[32:33], v[80:81], 0// 00000001BF60: D3F30070 0A02A120
	v_mfma_f32_16x16x32_fp8_fp8 v[112:115], a[34:35], v[82:83], v[112:115]// 00000001BF68: D3F30070 0DC2A522
	buffer_load_dwordx4 a[0:3], v22, s[16:19], 0 offen         // 00000001BF70: E05C1000 80840016
	v_mfma_f32_16x16x32_fp8_fp8 v[112:115], a[36:37], v[84:85], v[112:115]// 00000001BF78: D3F30070 0DC2A924
	v_mfma_f32_16x16x32_fp8_fp8 v[112:115], a[38:39], v[86:87], v[112:115]// 00000001BF80: D3F30070 0DC2AD26
	buffer_load_dword v17, v1, s[24:27], 0 offen               // 00000001BF88: E0501000 80061101
	v_mfma_f32_16x16x32_fp8_fp8 v[116:119], a[40:41], v[80:81], 0// 00000001BF90: D3F30074 0A02A128
	v_mfma_f32_16x16x32_fp8_fp8 v[116:119], a[42:43], v[82:83], v[116:119]// 00000001BF98: D3F30074 0DD2A52A
	buffer_load_dwordx4 a[4:7], v22, s[16:19], 0 offen offset:1024// 00000001BFA0: E05C1400 80840416
	v_mfma_f32_16x16x32_fp8_fp8 v[116:119], a[44:45], v[84:85], v[116:119]// 00000001BFA8: D3F30074 0DD2A92C
	v_mfma_f32_16x16x32_fp8_fp8 v[116:119], a[46:47], v[86:87], v[116:119]// 00000001BFB0: D3F30074 0DD2AD2E
	v_mfma_f32_16x16x32_fp8_fp8 v[120:123], a[48:49], v[80:81], 0// 00000001BFB8: D3F30078 0A02A130
	v_mfma_f32_16x16x32_fp8_fp8 v[120:123], a[50:51], v[82:83], v[120:123]// 00000001BFC0: D3F30078 0DE2A532
	buffer_load_dwordx4 a[8:11], v23, s[16:19], 0 offen        // 00000001BFC8: E05C1000 80840817
	v_mfma_f32_16x16x32_fp8_fp8 v[120:123], a[52:53], v[84:85], v[120:123]// 00000001BFD0: D3F30078 0DE2A934
	v_mfma_f32_16x16x32_fp8_fp8 v[120:123], a[54:55], v[86:87], v[120:123]// 00000001BFD8: D3F30078 0DE2AD36
	v_mfma_f32_16x16x32_fp8_fp8 v[124:127], a[56:57], v[80:81], 0// 00000001BFE0: D3F3007C 0A02A138
	v_mfma_f32_16x16x32_fp8_fp8 v[124:127], a[58:59], v[82:83], v[124:127]// 00000001BFE8: D3F3007C 0DF2A53A
	buffer_load_dwordx4 a[12:15], v23, s[16:19], 0 offen offset:1024// 00000001BFF0: E05C1400 80840C17
	v_mfma_f32_16x16x32_fp8_fp8 v[124:127], a[60:61], v[84:85], v[124:127]// 00000001BFF8: D3F3007C 0DF2A93C
	v_mfma_f32_16x16x32_fp8_fp8 v[124:127], a[62:63], v[86:87], v[124:127]// 00000001C000: D3F3007C 0DF2AD3E
	v_mfma_f32_16x16x32_fp8_fp8 v[128:131], a[32:33], v[88:89], 0// 00000001C008: D3F30080 0A02B120
	v_mfma_f32_16x16x32_fp8_fp8 v[128:131], a[34:35], v[90:91], v[128:131]// 00000001C010: D3F30080 0E02B522
	v_mfma_f32_16x16x32_fp8_fp8 v[128:131], a[36:37], v[92:93], v[128:131]// 00000001C018: D3F30080 0E02B924
	v_mfma_f32_16x16x32_fp8_fp8 v[128:131], a[38:39], v[94:95], v[128:131]// 00000001C020: D3F30080 0E02BD26
	v_mfma_f32_16x16x32_fp8_fp8 v[132:135], a[40:41], v[88:89], 0// 00000001C028: D3F30084 0A02B128
	v_mfma_f32_16x16x32_fp8_fp8 v[132:135], a[42:43], v[90:91], v[132:135]// 00000001C030: D3F30084 0E12B52A
	v_mfma_f32_16x16x32_fp8_fp8 v[132:135], a[44:45], v[92:93], v[132:135]// 00000001C038: D3F30084 0E12B92C
	v_mfma_f32_16x16x32_fp8_fp8 v[132:135], a[46:47], v[94:95], v[132:135]// 00000001C040: D3F30084 0E12BD2E
	v_mfma_f32_16x16x32_fp8_fp8 v[136:139], a[48:49], v[88:89], 0// 00000001C048: D3F30088 0A02B130
	v_mfma_f32_16x16x32_fp8_fp8 v[136:139], a[50:51], v[90:91], v[136:139]// 00000001C050: D3F30088 0E22B532
	v_mfma_f32_16x16x32_fp8_fp8 v[136:139], a[52:53], v[92:93], v[136:139]// 00000001C058: D3F30088 0E22B934
	v_mfma_f32_16x16x32_fp8_fp8 v[136:139], a[54:55], v[94:95], v[136:139]// 00000001C060: D3F30088 0E22BD36
	v_mfma_f32_16x16x32_fp8_fp8 v[140:143], a[56:57], v[88:89], 0// 00000001C068: D3F3008C 0A02B138
	v_mfma_f32_16x16x32_fp8_fp8 v[140:143], a[58:59], v[90:91], v[140:143]// 00000001C070: D3F3008C 0E32B53A
	v_mfma_f32_16x16x32_fp8_fp8 v[140:143], a[60:61], v[92:93], v[140:143]// 00000001C078: D3F3008C 0E32B93C
	v_mfma_f32_16x16x32_fp8_fp8 v[140:143], a[62:63], v[94:95], v[140:143]// 00000001C080: D3F3008C 0E32BD3E
	v_mfma_f32_16x16x32_fp8_fp8 v[144:147], a[32:33], v[96:97], 0// 00000001C088: D3F30090 0A02C120
	v_mfma_f32_16x16x32_fp8_fp8 v[144:147], a[34:35], v[98:99], v[144:147]// 00000001C090: D3F30090 0E42C522
	v_mfma_f32_16x16x32_fp8_fp8 v[144:147], a[36:37], v[100:101], v[144:147]// 00000001C098: D3F30090 0E42C924
	v_mfma_f32_16x16x32_fp8_fp8 v[144:147], a[38:39], v[102:103], v[144:147]// 00000001C0A0: D3F30090 0E42CD26
	v_mfma_f32_16x16x32_fp8_fp8 v[148:151], a[40:41], v[96:97], 0// 00000001C0A8: D3F30094 0A02C128
	v_mfma_f32_16x16x32_fp8_fp8 v[148:151], a[42:43], v[98:99], v[148:151]// 00000001C0B0: D3F30094 0E52C52A
	v_mfma_f32_16x16x32_fp8_fp8 v[148:151], a[44:45], v[100:101], v[148:151]// 00000001C0B8: D3F30094 0E52C92C
	v_mfma_f32_16x16x32_fp8_fp8 v[148:151], a[46:47], v[102:103], v[148:151]// 00000001C0C0: D3F30094 0E52CD2E
	v_mfma_f32_16x16x32_fp8_fp8 v[152:155], a[48:49], v[96:97], 0// 00000001C0C8: D3F30098 0A02C130
	v_mfma_f32_16x16x32_fp8_fp8 v[152:155], a[50:51], v[98:99], v[152:155]// 00000001C0D0: D3F30098 0E62C532
	v_mfma_f32_16x16x32_fp8_fp8 v[152:155], a[52:53], v[100:101], v[152:155]// 00000001C0D8: D3F30098 0E62C934
	v_mfma_f32_16x16x32_fp8_fp8 v[152:155], a[54:55], v[102:103], v[152:155]// 00000001C0E0: D3F30098 0E62CD36
	v_mfma_f32_16x16x32_fp8_fp8 v[156:159], a[56:57], v[96:97], 0// 00000001C0E8: D3F3009C 0A02C138
	v_mfma_f32_16x16x32_fp8_fp8 v[156:159], a[58:59], v[98:99], v[156:159]// 00000001C0F0: D3F3009C 0E72C53A
	v_mfma_f32_16x16x32_fp8_fp8 v[156:159], a[60:61], v[100:101], v[156:159]// 00000001C0F8: D3F3009C 0E72C93C
	v_mfma_f32_16x16x32_fp8_fp8 v[156:159], a[62:63], v[102:103], v[156:159]// 00000001C100: D3F3009C 0E72CD3E
	v_mfma_f32_16x16x32_fp8_fp8 v[160:163], a[32:33], v[104:105], 0// 00000001C108: D3F300A0 0A02D120
	v_mfma_f32_16x16x32_fp8_fp8 v[160:163], a[34:35], v[106:107], v[160:163]// 00000001C110: D3F300A0 0E82D522
	v_mfma_f32_16x16x32_fp8_fp8 v[160:163], a[36:37], v[108:109], v[160:163]// 00000001C118: D3F300A0 0E82D924
	v_mfma_f32_16x16x32_fp8_fp8 v[160:163], a[38:39], v[110:111], v[160:163]// 00000001C120: D3F300A0 0E82DD26
	v_mfma_f32_16x16x32_fp8_fp8 v[164:167], a[40:41], v[104:105], 0// 00000001C128: D3F300A4 0A02D128
	v_mfma_f32_16x16x32_fp8_fp8 v[164:167], a[42:43], v[106:107], v[164:167]// 00000001C130: D3F300A4 0E92D52A
	v_mfma_f32_16x16x32_fp8_fp8 v[164:167], a[44:45], v[108:109], v[164:167]// 00000001C138: D3F300A4 0E92D92C
	v_mfma_f32_16x16x32_fp8_fp8 v[164:167], a[46:47], v[110:111], v[164:167]// 00000001C140: D3F300A4 0E92DD2E
	v_mfma_f32_16x16x32_fp8_fp8 v[168:171], a[48:49], v[104:105], 0// 00000001C148: D3F300A8 0A02D130
	v_mfma_f32_16x16x32_fp8_fp8 v[168:171], a[50:51], v[106:107], v[168:171]// 00000001C150: D3F300A8 0EA2D532
	v_mfma_f32_16x16x32_fp8_fp8 v[168:171], a[52:53], v[108:109], v[168:171]// 00000001C158: D3F300A8 0EA2D934
	v_mfma_f32_16x16x32_fp8_fp8 v[168:171], a[54:55], v[110:111], v[168:171]// 00000001C160: D3F300A8 0EA2DD36
	v_mfma_f32_16x16x32_fp8_fp8 v[172:175], a[56:57], v[104:105], 0// 00000001C168: D3F300AC 0A02D138
	v_mfma_f32_16x16x32_fp8_fp8 v[172:175], a[58:59], v[106:107], v[172:175]// 00000001C170: D3F300AC 0EB2D53A
	v_mfma_f32_16x16x32_fp8_fp8 v[172:175], a[60:61], v[108:109], v[172:175]// 00000001C178: D3F300AC 0EB2D93C
	v_mfma_f32_16x16x32_fp8_fp8 v[172:175], a[62:63], v[110:111], v[172:175]// 00000001C180: D3F300AC 0EB2DD3E
	buffer_load_dword v42, v2, s[32:35], 0 offen               // 00000001C188: E0501000 80082A02
	v_mov_b32_dpp v64, v43 row_shr:4 row_mask:0xf bank_mask:0xf// 00000001C190: 7E8002FA FF01142B
	v_mov_b32_dpp v65, v43 row_shl:4 row_mask:0xf bank_mask:0xf// 00000001C198: 7E8202FA FF01042B
	v_cndmask_b32_e64 v248, v43, v64, s[44:45]                 // 00000001C1A0: D10000F8 00B2812B
	v_cndmask_b32_e64 v249, v65, v43, s[44:45]                 // 00000001C1A8: D10000F9 00B25741
	v_mov_b32_dpp v64, v248 row_shr:8 row_mask:0xf bank_mask:0xf// 00000001C1B0: 7E8002FA FF0118F8
	v_mov_b32_dpp v65, v248 row_shl:8 row_mask:0xf bank_mask:0xf// 00000001C1B8: 7E8202FA FF0108F8
	v_mov_b32_dpp v66, v249 row_shr:8 row_mask:0xf bank_mask:0xf// 00000001C1C0: 7E8402FA FF0118F9
	v_mov_b32_dpp v67, v249 row_shl:8 row_mask:0xf bank_mask:0xf// 00000001C1C8: 7E8602FA FF0108F9
	v_mov_b32_e32 v68, v248                                    // 00000001C1D0: 7E8803F8
	v_mov_b32_e32 v69, v249                                    // 00000001C1D4: 7E8A03F9
	v_cndmask_b32_e64 v248, v68, v64, s[42:43]                 // 00000001C1D8: D10000F8 00AA8144
	v_cndmask_b32_e64 v250, v68, v65, s[78:79]                 // 00000001C1E0: D10000FA 013A8344
	v_cndmask_b32_e64 v249, v69, v66, s[42:43]                 // 00000001C1E8: D10000F9 00AA8545
	v_cndmask_b32_e64 v251, v69, v67, s[78:79]                 // 00000001C1F0: D10000FB 013A8745
	v_mov_b32_dpp v64, v58 row_shr:4 row_mask:0xf bank_mask:0xf// 00000001C1F8: 7E8002FA FF01143A
	v_mov_b32_dpp v65, v58 row_shl:4 row_mask:0xf bank_mask:0xf// 00000001C200: 7E8202FA FF01043A
	v_cndmask_b32_e64 v252, v58, v64, s[44:45]                 // 00000001C208: D10000FC 00B2813A
	v_cndmask_b32_e64 v253, v65, v58, s[44:45]                 // 00000001C210: D10000FD 00B27541
	v_mov_b32_dpp v64, v252 row_shr:8 row_mask:0xf bank_mask:0xf// 00000001C218: 7E8002FA FF0118FC
	v_mov_b32_dpp v65, v252 row_shl:8 row_mask:0xf bank_mask:0xf// 00000001C220: 7E8202FA FF0108FC
	v_mov_b32_dpp v66, v253 row_shr:8 row_mask:0xf bank_mask:0xf// 00000001C228: 7E8402FA FF0118FD
	v_mov_b32_dpp v67, v253 row_shl:8 row_mask:0xf bank_mask:0xf// 00000001C230: 7E8602FA FF0108FD
	v_mov_b32_e32 v68, v252                                    // 00000001C238: 7E8803FC
	v_mov_b32_e32 v69, v253                                    // 00000001C23C: 7E8A03FD
	v_cndmask_b32_e64 v252, v68, v64, s[42:43]                 // 00000001C240: D10000FC 00AA8144
	v_cndmask_b32_e64 v254, v68, v65, s[78:79]                 // 00000001C248: D10000FE 013A8344
	v_cndmask_b32_e64 v253, v69, v66, s[42:43]                 // 00000001C250: D10000FD 00AA8545
	v_cndmask_b32_e64 v255, v69, v67, s[78:79]                 // 00000001C258: D10000FF 013A8745
	buffer_load_dword v57, v55, s[36:39], 0 offen              // 00000001C260: E0501000 80093937
	v_mul_f32_e32 v112, v18, v112                              // 00000001C268: 0AE0E112
	v_mul_f32_e32 v113, v18, v113                              // 00000001C26C: 0AE2E312
	v_mul_f32_e32 v114, v18, v114                              // 00000001C270: 0AE4E512
	v_mul_f32_e32 v115, v18, v115                              // 00000001C274: 0AE6E712
	v_mul_f32_e32 v116, v18, v116                              // 00000001C278: 0AE8E912
	v_mul_f32_e32 v117, v18, v117                              // 00000001C27C: 0AEAEB12
	v_mul_f32_e32 v118, v18, v118                              // 00000001C280: 0AECED12
	v_mul_f32_e32 v119, v18, v119                              // 00000001C284: 0AEEEF12
	v_mul_f32_e32 v120, v18, v120                              // 00000001C288: 0AF0F112
	v_mul_f32_e32 v121, v18, v121                              // 00000001C28C: 0AF2F312
	v_mul_f32_e32 v122, v18, v122                              // 00000001C290: 0AF4F512
	v_mul_f32_e32 v123, v18, v123                              // 00000001C294: 0AF6F712
	v_mul_f32_e32 v124, v18, v124                              // 00000001C298: 0AF8F912
	v_mul_f32_e32 v125, v18, v125                              // 00000001C29C: 0AFAFB12
	v_mul_f32_e32 v126, v18, v126                              // 00000001C2A0: 0AFCFD12
	v_mul_f32_e32 v127, v18, v127                              // 00000001C2A4: 0AFEFF12
	buffer_load_dwordx4 a[16:19], v24, s[16:19], 0 offen       // 00000001C2A8: E05C1000 80841018
	v_mul_f32_dpp v112, v248, v112 quad_perm:[0,0,0,0] row_mask:0xf bank_mask:0xf// 00000001C2B0: 0AE0E0FA FF0000F8
	v_mul_f32_dpp v113, v248, v113 quad_perm:[1,1,1,1] row_mask:0xf bank_mask:0xf// 00000001C2B8: 0AE2E2FA FF0055F8
	v_mul_f32_dpp v114, v248, v114 quad_perm:[2,2,2,2] row_mask:0xf bank_mask:0xf// 00000001C2C0: 0AE4E4FA FF00AAF8
	v_mul_f32_dpp v115, v248, v115 quad_perm:[3,3,3,3] row_mask:0xf bank_mask:0xf// 00000001C2C8: 0AE6E6FA FF00FFF8
	v_mul_f32_dpp v116, v249, v116 quad_perm:[0,0,0,0] row_mask:0xf bank_mask:0xf// 00000001C2D0: 0AE8E8FA FF0000F9
	v_mul_f32_dpp v117, v249, v117 quad_perm:[1,1,1,1] row_mask:0xf bank_mask:0xf// 00000001C2D8: 0AEAEAFA FF0055F9
	v_mul_f32_dpp v118, v249, v118 quad_perm:[2,2,2,2] row_mask:0xf bank_mask:0xf// 00000001C2E0: 0AECECFA FF00AAF9
	v_mul_f32_dpp v119, v249, v119 quad_perm:[3,3,3,3] row_mask:0xf bank_mask:0xf// 00000001C2E8: 0AEEEEFA FF00FFF9
	v_mul_f32_dpp v120, v250, v120 quad_perm:[0,0,0,0] row_mask:0xf bank_mask:0xf// 00000001C2F0: 0AF0F0FA FF0000FA
	v_mul_f32_dpp v121, v250, v121 quad_perm:[1,1,1,1] row_mask:0xf bank_mask:0xf// 00000001C2F8: 0AF2F2FA FF0055FA
	v_mul_f32_dpp v122, v250, v122 quad_perm:[2,2,2,2] row_mask:0xf bank_mask:0xf// 00000001C300: 0AF4F4FA FF00AAFA
	v_mul_f32_dpp v123, v250, v123 quad_perm:[3,3,3,3] row_mask:0xf bank_mask:0xf// 00000001C308: 0AF6F6FA FF00FFFA
	v_mul_f32_dpp v124, v251, v124 quad_perm:[0,0,0,0] row_mask:0xf bank_mask:0xf// 00000001C310: 0AF8F8FA FF0000FB
	v_mul_f32_dpp v125, v251, v125 quad_perm:[1,1,1,1] row_mask:0xf bank_mask:0xf// 00000001C318: 0AFAFAFA FF0055FB
	v_mul_f32_dpp v126, v251, v126 quad_perm:[2,2,2,2] row_mask:0xf bank_mask:0xf// 00000001C320: 0AFCFCFA FF00AAFB
	v_mul_f32_dpp v127, v251, v127 quad_perm:[3,3,3,3] row_mask:0xf bank_mask:0xf// 00000001C328: 0AFEFEFA FF00FFFB
	buffer_load_dwordx4 a[20:23], v24, s[16:19], 0 offen offset:1024// 00000001C330: E05C1400 80841418
	v_mov_b32_e32 v48, v112                                    // 00000001C338: 7E600370
	v_max3_f32 v48, v112, v113, v48                            // 00000001C33C: D1D30030 04C2E370
	v_max3_f32 v48, v114, v115, v48                            // 00000001C344: D1D30030 04C2E772
	v_max3_f32 v48, v116, v117, v48                            // 00000001C34C: D1D30030 04C2EB74
	v_max3_f32 v48, v118, v119, v48                            // 00000001C354: D1D30030 04C2EF76
	v_max3_f32 v48, v120, v121, v48                            // 00000001C35C: D1D30030 04C2F378
	v_max3_f32 v48, v122, v123, v48                            // 00000001C364: D1D30030 04C2F77A
	v_max3_f32 v48, v124, v125, v48                            // 00000001C36C: D1D30030 04C2FB7C
	v_max3_f32 v48, v126, v127, v48                            // 00000001C374: D1D30030 04C2FF7E
	ds_write_b32 v8, v48 offset:16896                          // 00000001C37C: D81A4200 00003008
	buffer_load_dwordx4 a[24:27], v25, s[16:19], 0 offen       // 00000001C384: E05C1000 80841819
	v_mul_u32_u24_dpp v64, v16, v54 row_newbcast:1 row_mask:0xf bank_mask:0xf// 00000001C38C: 10806CFA FF015110
	v_mul_u32_u24_dpp v65, v16, v54 row_newbcast:5 row_mask:0xf bank_mask:0xf// 00000001C394: 10826CFA FF015510
	v_mul_u32_u24_dpp v66, v16, v54 row_newbcast:9 row_mask:0xf bank_mask:0xf// 00000001C39C: 10846CFA FF015910
	v_mul_u32_u24_dpp v67, v16, v54 row_newbcast:13 row_mask:0xf bank_mask:0xf// 00000001C3A4: 10866CFA FF015D10
	v_add_u32_e32 v30, v64, v6                                 // 00000001C3AC: 683C0D40
	v_add_u32_e32 v31, v65, v6                                 // 00000001C3B0: 683E0D41
	v_add_u32_e32 v32, v66, v6                                 // 00000001C3B4: 68400D42
	v_add_u32_e32 v33, v67, v6                                 // 00000001C3B8: 68420D43
	v_mul_f32_e32 v208, v49, v208                              // 00000001C3BC: 0BA1A131
	v_mul_f32_e32 v209, v49, v209                              // 00000001C3C0: 0BA3A331
	v_mul_f32_e32 v210, v49, v210                              // 00000001C3C4: 0BA5A531
	v_mul_f32_e32 v211, v49, v211                              // 00000001C3C8: 0BA7A731
	v_mul_f32_e32 v212, v49, v212                              // 00000001C3CC: 0BA9A931
	v_mul_f32_e32 v213, v49, v213                              // 00000001C3D0: 0BABAB31
	v_mul_f32_e32 v214, v49, v214                              // 00000001C3D4: 0BADAD31
	v_mul_f32_e32 v215, v49, v215                              // 00000001C3D8: 0BAFAF31
	s_waitcnt lgkmcnt(0)                                       // 00000001C3DC: BF8CC07F
	s_barrier                                                  // 00000001C3E0: BF8A0000
	ds_read_b32 v64, v7 offset:16896                           // 00000001C3E4: D86C4200 40000007
	ds_read_b32 v65, v7 offset:16960                           // 00000001C3EC: D86C4240 41000007
	ds_read_b32 v66, v7 offset:17024                           // 00000001C3F4: D86C4280 42000007
	ds_read_b32 v67, v7 offset:17088                           // 00000001C3FC: D86C42C0 43000007
	ds_read_b32 v68, v7 offset:17152                           // 00000001C404: D86C4300 44000007
	ds_read_b32 v69, v7 offset:17216                           // 00000001C40C: D86C4340 45000007
	ds_read_b32 v70, v7 offset:17280                           // 00000001C414: D86C4380 46000007
	ds_read_b32 v71, v7 offset:17344                           // 00000001C41C: D86C43C0 47000007
	ds_read_b32 v72, v7 offset:17408                           // 00000001C424: D86C4400 48000007
	ds_read_b32 v73, v7 offset:17472                           // 00000001C42C: D86C4440 49000007
	ds_read_b32 v74, v7 offset:17536                           // 00000001C434: D86C4480 4A000007
	ds_read_b32 v75, v7 offset:17600                           // 00000001C43C: D86C44C0 4B000007
	ds_read_b32 v76, v7 offset:17664                           // 00000001C444: D86C4500 4C000007
	ds_read_b32 v77, v7 offset:17728                           // 00000001C44C: D86C4540 4D000007
	ds_read_b32 v78, v7 offset:17792                           // 00000001C454: D86C4580 4E000007
	ds_read_b32 v79, v7 offset:17856                           // 00000001C45C: D86C45C0 4F000007
	buffer_load_dwordx4 a[28:31], v25, s[16:19], 0 offen offset:1024// 00000001C464: E05C1400 80841C19
	v_mul_f32_e32 v176, v44, v176                              // 00000001C46C: 0B61612C
	v_mul_f32_e32 v177, v44, v177                              // 00000001C470: 0B63632C
	v_mul_f32_e32 v178, v44, v178                              // 00000001C474: 0B65652C
	v_mul_f32_e32 v179, v44, v179                              // 00000001C478: 0B67672C
	v_mul_f32_e32 v180, v44, v180                              // 00000001C47C: 0B69692C
	v_mul_f32_e32 v181, v44, v181                              // 00000001C480: 0B6B6B2C
	v_mul_f32_e32 v182, v44, v182                              // 00000001C484: 0B6D6D2C
	v_mul_f32_e32 v183, v44, v183                              // 00000001C488: 0B6F6F2C
	s_waitcnt lgkmcnt(0)                                       // 00000001C48C: BF8CC07F
	v_max3_f32 v48, v64, v65, v48                              // 00000001C490: D1D30030 04C28340
	v_max3_f32 v48, v66, v67, v48                              // 00000001C498: D1D30030 04C28742
	v_max3_f32 v48, v68, v69, v48                              // 00000001C4A0: D1D30030 04C28B44
	v_max3_f32 v48, v70, v71, v48                              // 00000001C4A8: D1D30030 04C28F46
	v_max3_f32 v48, v72, v73, v48                              // 00000001C4B0: D1D30030 04C29348
	v_max3_f32 v48, v74, v75, v48                              // 00000001C4B8: D1D30030 04C2974A
	v_max3_f32 v48, v76, v77, v48                              // 00000001C4C0: D1D30030 04C29B4C
	v_max3_f32 v48, v78, v79, v48                              // 00000001C4C8: D1D30030 04C29F4E
	buffer_load_dwordx4 a[64:67], v30, s[20:23], 0 offen       // 00000001C4D0: E05C1000 8085401E
	v_mov_b32_e32 v64, 0xff800000                              // 00000001C4D8: 7E8002FF FF800000
	v_cmp_eq_u32_e64 s[40:41], v64, v11                        // 00000001C4E0: D0CA0028 00021740
	s_nop 1                                                    // 00000001C4E8: BF800001
	v_max_f32_e32 v15, v48, v11                                // 00000001C4EC: 161E1730
	v_mul_f32_e32 v53, s64, v15                                // 00000001C4F0: 0A6A1E40
	v_fma_f32 v112, v112, s64, -v53                            // 00000001C4F4: D1CB0070 84D48170
	v_fma_f32 v113, v113, s64, -v53                            // 00000001C4FC: D1CB0071 84D48171
	v_fma_f32 v114, v114, s64, -v53                            // 00000001C504: D1CB0072 84D48172
	v_fma_f32 v115, v115, s64, -v53                            // 00000001C50C: D1CB0073 84D48173
	v_fma_f32 v116, v116, s64, -v53                            // 00000001C514: D1CB0074 84D48174
	v_fma_f32 v117, v117, s64, -v53                            // 00000001C51C: D1CB0075 84D48175
	v_fma_f32 v118, v118, s64, -v53                            // 00000001C524: D1CB0076 84D48176
	v_fma_f32 v119, v119, s64, -v53                            // 00000001C52C: D1CB0077 84D48177
	v_fma_f32 v120, v120, s64, -v53                            // 00000001C534: D1CB0078 84D48178
	v_fma_f32 v121, v121, s64, -v53                            // 00000001C53C: D1CB0079 84D48179
	v_fma_f32 v122, v122, s64, -v53                            // 00000001C544: D1CB007A 84D4817A
	v_fma_f32 v123, v123, s64, -v53                            // 00000001C54C: D1CB007B 84D4817B
	v_fma_f32 v124, v124, s64, -v53                            // 00000001C554: D1CB007C 84D4817C
	v_fma_f32 v125, v125, s64, -v53                            // 00000001C55C: D1CB007D 84D4817D
	v_fma_f32 v126, v126, s64, -v53                            // 00000001C564: D1CB007E 84D4817E
	v_fma_f32 v127, v127, s64, -v53                            // 00000001C56C: D1CB007F 84D4817F
	buffer_load_dwordx4 a[68:71], v31, s[20:23], 0 offen       // 00000001C574: E05C1000 8085441F
	v_exp_f32_e32 v112, v112                                   // 00000001C57C: 7EE04170
	v_exp_f32_e32 v113, v113                                   // 00000001C580: 7EE24171
	v_exp_f32_e32 v114, v114                                   // 00000001C584: 7EE44172
	v_exp_f32_e32 v115, v115                                   // 00000001C588: 7EE64173
	v_exp_f32_e32 v116, v116                                   // 00000001C58C: 7EE84174
	v_exp_f32_e32 v117, v117                                   // 00000001C590: 7EEA4175
	v_exp_f32_e32 v118, v118                                   // 00000001C594: 7EEC4176
	v_exp_f32_e32 v119, v119                                   // 00000001C598: 7EEE4177
	v_exp_f32_e32 v120, v120                                   // 00000001C59C: 7EF04178
	v_exp_f32_e32 v121, v121                                   // 00000001C5A0: 7EF24179
	v_exp_f32_e32 v122, v122                                   // 00000001C5A4: 7EF4417A
	v_exp_f32_e32 v123, v123                                   // 00000001C5A8: 7EF6417B
	v_exp_f32_e32 v124, v124                                   // 00000001C5AC: 7EF8417C
	v_exp_f32_e32 v125, v125                                   // 00000001C5B0: 7EFA417D
	v_exp_f32_e32 v126, v126                                   // 00000001C5B4: 7EFC417E
	v_exp_f32_e32 v127, v127                                   // 00000001C5B8: 7EFE417F
	buffer_load_dwordx4 a[72:75], v32, s[20:23], 0 offen       // 00000001C5BC: E05C1000 80854820
	v_mul_f32_dpp v240, v252, v112 quad_perm:[0,0,0,0] row_mask:0xf bank_mask:0xf// 00000001C5C4: 0BE0E0FA FF0000FC
	v_mul_f32_dpp v241, v252, v113 quad_perm:[1,1,1,1] row_mask:0xf bank_mask:0xf// 00000001C5CC: 0BE2E2FA FF0055FC
	v_mul_f32_dpp v242, v252, v114 quad_perm:[2,2,2,2] row_mask:0xf bank_mask:0xf// 00000001C5D4: 0BE4E4FA FF00AAFC
	v_mul_f32_dpp v243, v252, v115 quad_perm:[3,3,3,3] row_mask:0xf bank_mask:0xf// 00000001C5DC: 0BE6E6FA FF00FFFC
	v_mul_f32_dpp v244, v253, v116 quad_perm:[0,0,0,0] row_mask:0xf bank_mask:0xf// 00000001C5E4: 0BE8E8FA FF0000FD
	v_mul_f32_dpp v245, v253, v117 quad_perm:[1,1,1,1] row_mask:0xf bank_mask:0xf// 00000001C5EC: 0BEAEAFA FF0055FD
	v_mul_f32_dpp v246, v253, v118 quad_perm:[2,2,2,2] row_mask:0xf bank_mask:0xf// 00000001C5F4: 0BECECFA FF00AAFD
	v_mul_f32_dpp v247, v253, v119 quad_perm:[3,3,3,3] row_mask:0xf bank_mask:0xf// 00000001C5FC: 0BEEEEFA FF00FFFD
	v_mul_f32_dpp v248, v254, v120 quad_perm:[0,0,0,0] row_mask:0xf bank_mask:0xf// 00000001C604: 0BF0F0FA FF0000FE
	v_mul_f32_dpp v249, v254, v121 quad_perm:[1,1,1,1] row_mask:0xf bank_mask:0xf// 00000001C60C: 0BF2F2FA FF0055FE
	v_mul_f32_dpp v250, v254, v122 quad_perm:[2,2,2,2] row_mask:0xf bank_mask:0xf// 00000001C614: 0BF4F4FA FF00AAFE
	v_mul_f32_dpp v251, v254, v123 quad_perm:[3,3,3,3] row_mask:0xf bank_mask:0xf// 00000001C61C: 0BF6F6FA FF00FFFE
	v_mul_f32_dpp v252, v255, v124 quad_perm:[0,0,0,0] row_mask:0xf bank_mask:0xf// 00000001C624: 0BF8F8FA FF0000FF
	v_mul_f32_dpp v253, v255, v125 quad_perm:[1,1,1,1] row_mask:0xf bank_mask:0xf// 00000001C62C: 0BFAFAFA FF0055FF
	v_mul_f32_dpp v254, v255, v126 quad_perm:[2,2,2,2] row_mask:0xf bank_mask:0xf// 00000001C634: 0BFCFCFA FF00AAFF
	v_mul_f32_dpp v255, v255, v127 quad_perm:[3,3,3,3] row_mask:0xf bank_mask:0xf// 00000001C63C: 0BFEFEFA FF00FFFF
	v_mov_b32_e32 v48, 0x358637bd                              // 00000001C644: 7E6002FF 358637BD
	v_max3_f32 v48, |v240|, |v241|, v48                        // 00000001C64C: D1D30330 04C3E3F0
	v_max3_f32 v48, |v242|, |v243|, v48                        // 00000001C654: D1D30330 04C3E7F2
	v_max3_f32 v48, |v244|, |v245|, v48                        // 00000001C65C: D1D30330 04C3EBF4
	v_max3_f32 v48, |v246|, |v247|, v48                        // 00000001C664: D1D30330 04C3EFF6
	v_max3_f32 v48, |v248|, |v249|, v48                        // 00000001C66C: D1D30330 04C3F3F8
	v_max3_f32 v48, |v250|, |v251|, v48                        // 00000001C674: D1D30330 04C3F7FA
	v_max3_f32 v48, |v252|, |v253|, v48                        // 00000001C67C: D1D30330 04C3FBFC
	v_max3_f32 v48, |v254|, |v255|, v48                        // 00000001C684: D1D30330 04C3FFFE
	buffer_load_dwordx4 a[76:79], v33, s[20:23], 0 offen       // 00000001C68C: E05C1000 80854C21
	ds_write_b32 v8, v48 offset:20992                          // 00000001C694: D81A5200 00003008
	v_sub_f32_e32 v49, v11, v15                                // 00000001C69C: 04621F0B
	v_cndmask_b32_e64 v49, v49, 0, s[40:41]                    // 00000001C6A0: D1000031 00A10131
	v_mov_b32_e32 v11, v15                                     // 00000001C6A8: 7E16030F
	v_mul_f32_e32 v49, s64, v49                                // 00000001C6AC: 0A626240
	v_exp_f32_e32 v49, v49                                     // 00000001C6B0: 7E624131
	s_waitcnt lgkmcnt(0)                                       // 00000001C6B4: BF8CC07F
	s_barrier                                                  // 00000001C6B8: BF8A0000
	ds_read_b32 v64, v7 offset:20992                           // 00000001C6BC: D86C5200 40000007
	ds_read_b32 v65, v7 offset:21056                           // 00000001C6C4: D86C5240 41000007
	ds_read_b32 v66, v7 offset:21120                           // 00000001C6CC: D86C5280 42000007
	ds_read_b32 v67, v7 offset:21184                           // 00000001C6D4: D86C52C0 43000007
	ds_read_b32 v68, v7 offset:21248                           // 00000001C6DC: D86C5300 44000007
	ds_read_b32 v69, v7 offset:21312                           // 00000001C6E4: D86C5340 45000007
	ds_read_b32 v70, v7 offset:21376                           // 00000001C6EC: D86C5380 46000007
	ds_read_b32 v71, v7 offset:21440                           // 00000001C6F4: D86C53C0 47000007
	ds_read_b32 v72, v7 offset:21504                           // 00000001C6FC: D86C5400 48000007
	ds_read_b32 v73, v7 offset:21568                           // 00000001C704: D86C5440 49000007
	ds_read_b32 v74, v7 offset:21632                           // 00000001C70C: D86C5480 4A000007
	ds_read_b32 v75, v7 offset:21696                           // 00000001C714: D86C54C0 4B000007
	ds_read_b32 v76, v7 offset:21760                           // 00000001C71C: D86C5500 4C000007
	ds_read_b32 v77, v7 offset:21824                           // 00000001C724: D86C5540 4D000007
	ds_read_b32 v78, v7 offset:21888                           // 00000001C72C: D86C5580 4E000007
	ds_read_b32 v79, v7 offset:21952                           // 00000001C734: D86C55C0 4F000007
	v_mul_f32_e32 v38, v49, v38                                // 00000001C73C: 0A4C4D31
	v_mov_b32_e32 v15, v112                                    // 00000001C740: 7E1E0370
	v_add_f32_e32 v15, v113, v15                               // 00000001C744: 021E1F71
	v_add_f32_e32 v15, v114, v15                               // 00000001C748: 021E1F72
	v_add_f32_e32 v15, v115, v15                               // 00000001C74C: 021E1F73
	v_add_f32_e32 v15, v116, v15                               // 00000001C750: 021E1F74
	v_add_f32_e32 v15, v117, v15                               // 00000001C754: 021E1F75
	v_add_f32_e32 v15, v118, v15                               // 00000001C758: 021E1F76
	v_add_f32_e32 v15, v119, v15                               // 00000001C75C: 021E1F77
	v_add_f32_e32 v15, v120, v15                               // 00000001C760: 021E1F78
	v_add_f32_e32 v15, v121, v15                               // 00000001C764: 021E1F79
	v_add_f32_e32 v15, v122, v15                               // 00000001C768: 021E1F7A
	v_add_f32_e32 v15, v123, v15                               // 00000001C76C: 021E1F7B
	v_add_f32_e32 v15, v124, v15                               // 00000001C770: 021E1F7C
	v_add_f32_e32 v15, v125, v15                               // 00000001C774: 021E1F7D
	v_add_f32_e32 v15, v126, v15                               // 00000001C778: 021E1F7E
	v_add_f32_e32 v15, v127, v15                               // 00000001C77C: 021E1F7F
	v_add_f32_e32 v38, v15, v38                                // 00000001C780: 024C4D0F
	s_waitcnt lgkmcnt(0)                                       // 00000001C784: BF8CC07F
	v_max3_f32 v48, |v64|, |v65|, v48                          // 00000001C788: D1D30330 04C28340
	v_max3_f32 v48, |v66|, |v67|, v48                          // 00000001C790: D1D30330 04C28742
	v_max3_f32 v48, |v68|, |v69|, v48                          // 00000001C798: D1D30330 04C28B44
	v_max3_f32 v48, |v70|, |v71|, v48                          // 00000001C7A0: D1D30330 04C28F46
	v_max3_f32 v48, |v72|, |v73|, v48                          // 00000001C7A8: D1D30330 04C29348
	v_max3_f32 v48, |v74|, |v75|, v48                          // 00000001C7B0: D1D30330 04C2974A
	v_max3_f32 v48, |v76|, |v77|, v48                          // 00000001C7B8: D1D30330 04C29B4C
	v_max3_f32 v48, |v78|, |v79|, v48                          // 00000001C7C0: D1D30330 04C29F4E
	s_nop 2                                                    // 00000001C7C8: BF800002
	v_rcp_f32_e32 v48, v48                                     // 00000001C7CC: 7E604530
	s_nop 1                                                    // 00000001C7D0: BF800001
	v_mul_f32_e32 v48, 0x43e00000, v48                         // 00000001C7D4: 0A6060FF 43E00000
	v_mul_f32_e32 v112, v48, v240                              // 00000001C7DC: 0AE1E130
	v_mul_f32_e32 v113, v48, v241                              // 00000001C7E0: 0AE3E330
	v_mul_f32_e32 v114, v48, v242                              // 00000001C7E4: 0AE5E530
	v_mul_f32_e32 v115, v48, v243                              // 00000001C7E8: 0AE7E730
	v_mul_f32_e32 v116, v48, v244                              // 00000001C7EC: 0AE9E930
	v_mul_f32_e32 v117, v48, v245                              // 00000001C7F0: 0AEBEB30
	v_mul_f32_e32 v118, v48, v246                              // 00000001C7F4: 0AEDED30
	v_mul_f32_e32 v119, v48, v247                              // 00000001C7F8: 0AEFEF30
	v_mul_f32_e32 v120, v48, v248                              // 00000001C7FC: 0AF1F130
	v_mul_f32_e32 v121, v48, v249                              // 00000001C800: 0AF3F330
	v_mul_f32_e32 v122, v48, v250                              // 00000001C804: 0AF5F530
	v_mul_f32_e32 v123, v48, v251                              // 00000001C808: 0AF7F730
	v_mul_f32_e32 v124, v48, v252                              // 00000001C80C: 0AF9F930
	v_mul_f32_e32 v125, v48, v253                              // 00000001C810: 0AFBFB30
	v_mul_f32_e32 v126, v48, v254                              // 00000001C814: 0AFDFD30
	v_mul_f32_e32 v127, v48, v255                              // 00000001C818: 0AFFFF30
	v_cvt_pk_fp8_f32 v112, v112, v113                          // 00000001C81C: D2A20070 0002E370
	v_cvt_pk_fp8_f32 v112, v114, v115 op_sel:[0,0,1]           // 00000001C824: D2A24070 0002E772
	v_cvt_pk_fp8_f32 v113, v116, v117                          // 00000001C82C: D2A20071 0002EB74
	v_cvt_pk_fp8_f32 v113, v118, v119 op_sel:[0,0,1]           // 00000001C834: D2A24071 0002EF76
	v_cvt_pk_fp8_f32 v114, v120, v121                          // 00000001C83C: D2A20072 0002F378
	v_cvt_pk_fp8_f32 v114, v122, v123 op_sel:[0,0,1]           // 00000001C844: D2A24072 0002F77A
	v_cvt_pk_fp8_f32 v115, v124, v125                          // 00000001C84C: D2A20073 0002FB7C
	v_cvt_pk_fp8_f32 v115, v126, v127 op_sel:[0,0,1]           // 00000001C854: D2A24073 0002FF7E
	ds_write_b32 v10, v112 offset:25088                        // 00000001C85C: D81A6200 0000700A
	ds_write_b32 v10, v113 offset:26112                        // 00000001C864: D81A6600 0000710A
	ds_write_b32 v10, v114 offset:27136                        // 00000001C86C: D81A6A00 0000720A
	ds_write_b32 v10, v115 offset:28160                        // 00000001C874: D81A6E00 0000730A
	v_add_f32_e32 v208, v208, v176                             // 00000001C87C: 03A161D0
	v_add_f32_e32 v209, v209, v177                             // 00000001C880: 03A363D1
	v_add_f32_e32 v210, v210, v178                             // 00000001C884: 03A565D2
	v_add_f32_e32 v211, v211, v179                             // 00000001C888: 03A767D3
	v_add_f32_e32 v212, v212, v180                             // 00000001C88C: 03A969D4
	v_add_f32_e32 v213, v213, v181                             // 00000001C890: 03AB6BD5
	v_add_f32_e32 v214, v214, v182                             // 00000001C894: 03AD6DD6
	v_add_f32_e32 v215, v215, v183                             // 00000001C898: 03AF6FD7
	v_rcp_f32_e32 v44, v48                                     // 00000001C89C: 7E584530
	s_waitcnt lgkmcnt(0)                                       // 00000001C8A0: BF8CC07F
	s_barrier                                                  // 00000001C8A4: BF8A0000
	ds_read_b64 v[112:113], v9 offset:25088                    // 00000001C8A8: D8EC6200 70000009
	ds_read_b64 v[114:115], v9 offset:25216                    // 00000001C8B0: D8EC6280 72000009
	ds_read_b64 v[116:117], v9 offset:26112                    // 00000001C8B8: D8EC6600 74000009
	ds_read_b64 v[118:119], v9 offset:26240                    // 00000001C8C0: D8EC6680 76000009
	ds_read_b64 v[120:121], v9 offset:27136                    // 00000001C8C8: D8EC6A00 78000009
	ds_read_b64 v[122:123], v9 offset:27264                    // 00000001C8D0: D8EC6A80 7A000009
	ds_read_b64 v[124:125], v9 offset:28160                    // 00000001C8D8: D8EC6E00 7C000009
	ds_read_b64 v[126:127], v9 offset:28288                    // 00000001C8E0: D8EC6E80 7E000009
	v_mov_b32_dpp v64, v43 row_shr:4 row_mask:0xf bank_mask:0xf// 00000001C8E8: 7E8002FA FF01142B
	v_mov_b32_dpp v65, v43 row_shl:4 row_mask:0xf bank_mask:0xf// 00000001C8F0: 7E8202FA FF01042B
	v_cndmask_b32_e64 v248, v43, v64, s[44:45]                 // 00000001C8F8: D10000F8 00B2812B
	v_cndmask_b32_e64 v249, v65, v43, s[44:45]                 // 00000001C900: D10000F9 00B25741
	v_mov_b32_dpp v64, v248 row_shr:8 row_mask:0xf bank_mask:0xf// 00000001C908: 7E8002FA FF0118F8
	v_mov_b32_dpp v65, v248 row_shl:8 row_mask:0xf bank_mask:0xf// 00000001C910: 7E8202FA FF0108F8
	v_mov_b32_dpp v66, v249 row_shr:8 row_mask:0xf bank_mask:0xf// 00000001C918: 7E8402FA FF0118F9
	v_mov_b32_dpp v67, v249 row_shl:8 row_mask:0xf bank_mask:0xf// 00000001C920: 7E8602FA FF0108F9
	v_mov_b32_e32 v68, v248                                    // 00000001C928: 7E8803F8
	v_mov_b32_e32 v69, v249                                    // 00000001C92C: 7E8A03F9
	v_cndmask_b32_e64 v248, v68, v64, s[42:43]                 // 00000001C930: D10000F8 00AA8144
	v_cndmask_b32_e64 v250, v68, v65, s[78:79]                 // 00000001C938: D10000FA 013A8344
	v_cndmask_b32_e64 v249, v69, v66, s[42:43]                 // 00000001C940: D10000F9 00AA8545
	v_cndmask_b32_e64 v251, v69, v67, s[78:79]                 // 00000001C948: D10000FB 013A8745
	v_mov_b32_dpp v64, v58 row_shr:4 row_mask:0xf bank_mask:0xf// 00000001C950: 7E8002FA FF01143A
	v_mov_b32_dpp v65, v58 row_shl:4 row_mask:0xf bank_mask:0xf// 00000001C958: 7E8202FA FF01043A
	v_cndmask_b32_e64 v252, v58, v64, s[44:45]                 // 00000001C960: D10000FC 00B2813A
	v_cndmask_b32_e64 v253, v65, v58, s[44:45]                 // 00000001C968: D10000FD 00B27541
	v_mov_b32_dpp v64, v252 row_shr:8 row_mask:0xf bank_mask:0xf// 00000001C970: 7E8002FA FF0118FC
	v_mov_b32_dpp v65, v252 row_shl:8 row_mask:0xf bank_mask:0xf// 00000001C978: 7E8202FA FF0108FC
	v_mov_b32_dpp v66, v253 row_shr:8 row_mask:0xf bank_mask:0xf// 00000001C980: 7E8402FA FF0118FD
	v_mov_b32_dpp v67, v253 row_shl:8 row_mask:0xf bank_mask:0xf// 00000001C988: 7E8602FA FF0108FD
	v_mov_b32_e32 v68, v252                                    // 00000001C990: 7E8803FC
	v_mov_b32_e32 v69, v253                                    // 00000001C994: 7E8A03FD
	v_cndmask_b32_e64 v252, v68, v64, s[42:43]                 // 00000001C998: D10000FC 00AA8144
	v_cndmask_b32_e64 v254, v68, v65, s[78:79]                 // 00000001C9A0: D10000FE 013A8344
	v_cndmask_b32_e64 v253, v69, v66, s[42:43]                 // 00000001C9A8: D10000FD 00AA8545
	v_cndmask_b32_e64 v255, v69, v67, s[78:79]                 // 00000001C9B0: D10000FF 013A8745
	v_mul_f32_e32 v128, v19, v128                              // 00000001C9B8: 0B010113
	v_mul_f32_e32 v129, v19, v129                              // 00000001C9BC: 0B030313
	v_mul_f32_e32 v130, v19, v130                              // 00000001C9C0: 0B050513
	v_mul_f32_e32 v131, v19, v131                              // 00000001C9C4: 0B070713
	v_mul_f32_e32 v132, v19, v132                              // 00000001C9C8: 0B090913
	v_mul_f32_e32 v133, v19, v133                              // 00000001C9CC: 0B0B0B13
	v_mul_f32_e32 v134, v19, v134                              // 00000001C9D0: 0B0D0D13
	v_mul_f32_e32 v135, v19, v135                              // 00000001C9D4: 0B0F0F13
	v_mul_f32_e32 v136, v19, v136                              // 00000001C9D8: 0B111113
	v_mul_f32_e32 v137, v19, v137                              // 00000001C9DC: 0B131313
	v_mul_f32_e32 v138, v19, v138                              // 00000001C9E0: 0B151513
	v_mul_f32_e32 v139, v19, v139                              // 00000001C9E4: 0B171713
	v_mul_f32_e32 v140, v19, v140                              // 00000001C9E8: 0B191913
	v_mul_f32_e32 v141, v19, v141                              // 00000001C9EC: 0B1B1B13
	v_mul_f32_e32 v142, v19, v142                              // 00000001C9F0: 0B1D1D13
	v_mul_f32_e32 v143, v19, v143                              // 00000001C9F4: 0B1F1F13
	v_mul_f32_dpp v128, v248, v128 quad_perm:[0,0,0,0] row_mask:0xf bank_mask:0xf// 00000001C9F8: 0B0100FA FF0000F8
	v_mul_f32_dpp v129, v248, v129 quad_perm:[1,1,1,1] row_mask:0xf bank_mask:0xf// 00000001CA00: 0B0302FA FF0055F8
	v_mul_f32_dpp v130, v248, v130 quad_perm:[2,2,2,2] row_mask:0xf bank_mask:0xf// 00000001CA08: 0B0504FA FF00AAF8
	v_mul_f32_dpp v131, v248, v131 quad_perm:[3,3,3,3] row_mask:0xf bank_mask:0xf// 00000001CA10: 0B0706FA FF00FFF8
	v_mul_f32_dpp v132, v249, v132 quad_perm:[0,0,0,0] row_mask:0xf bank_mask:0xf// 00000001CA18: 0B0908FA FF0000F9
	v_mul_f32_dpp v133, v249, v133 quad_perm:[1,1,1,1] row_mask:0xf bank_mask:0xf// 00000001CA20: 0B0B0AFA FF0055F9
	v_mul_f32_dpp v134, v249, v134 quad_perm:[2,2,2,2] row_mask:0xf bank_mask:0xf// 00000001CA28: 0B0D0CFA FF00AAF9
	v_mul_f32_dpp v135, v249, v135 quad_perm:[3,3,3,3] row_mask:0xf bank_mask:0xf// 00000001CA30: 0B0F0EFA FF00FFF9
	v_mul_f32_dpp v136, v250, v136 quad_perm:[0,0,0,0] row_mask:0xf bank_mask:0xf// 00000001CA38: 0B1110FA FF0000FA
	v_mul_f32_dpp v137, v250, v137 quad_perm:[1,1,1,1] row_mask:0xf bank_mask:0xf// 00000001CA40: 0B1312FA FF0055FA
	v_mul_f32_dpp v138, v250, v138 quad_perm:[2,2,2,2] row_mask:0xf bank_mask:0xf// 00000001CA48: 0B1514FA FF00AAFA
	v_mul_f32_dpp v139, v250, v139 quad_perm:[3,3,3,3] row_mask:0xf bank_mask:0xf// 00000001CA50: 0B1716FA FF00FFFA
	v_mul_f32_dpp v140, v251, v140 quad_perm:[0,0,0,0] row_mask:0xf bank_mask:0xf// 00000001CA58: 0B1918FA FF0000FB
	v_mul_f32_dpp v141, v251, v141 quad_perm:[1,1,1,1] row_mask:0xf bank_mask:0xf// 00000001CA60: 0B1B1AFA FF0055FB
	v_mul_f32_dpp v142, v251, v142 quad_perm:[2,2,2,2] row_mask:0xf bank_mask:0xf// 00000001CA68: 0B1D1CFA FF00AAFB
	v_mul_f32_dpp v143, v251, v143 quad_perm:[3,3,3,3] row_mask:0xf bank_mask:0xf// 00000001CA70: 0B1F1EFA FF00FFFB
	v_mov_b32_e32 v48, v128                                    // 00000001CA78: 7E600380
	v_max3_f32 v48, v128, v129, v48                            // 00000001CA7C: D1D30030 04C30380
	v_max3_f32 v48, v130, v131, v48                            // 00000001CA84: D1D30030 04C30782
	v_max3_f32 v48, v132, v133, v48                            // 00000001CA8C: D1D30030 04C30B84
	v_max3_f32 v48, v134, v135, v48                            // 00000001CA94: D1D30030 04C30F86
	v_max3_f32 v48, v136, v137, v48                            // 00000001CA9C: D1D30030 04C31388
	v_max3_f32 v48, v138, v139, v48                            // 00000001CAA4: D1D30030 04C3178A
	v_max3_f32 v48, v140, v141, v48                            // 00000001CAAC: D1D30030 04C31B8C
	v_max3_f32 v48, v142, v143, v48                            // 00000001CAB4: D1D30030 04C31F8E
	ds_write_b32 v8, v48 offset:16896                          // 00000001CABC: D81A4200 00003008
	v_mul_f32_e32 v216, v50, v216                              // 00000001CAC4: 0BB1B132
	v_mul_f32_e32 v217, v50, v217                              // 00000001CAC8: 0BB3B332
	v_mul_f32_e32 v218, v50, v218                              // 00000001CACC: 0BB5B532
	v_mul_f32_e32 v219, v50, v219                              // 00000001CAD0: 0BB7B732
	v_mul_f32_e32 v220, v50, v220                              // 00000001CAD4: 0BB9B932
	v_mul_f32_e32 v221, v50, v221                              // 00000001CAD8: 0BBBBB32
	v_mul_f32_e32 v222, v50, v222                              // 00000001CADC: 0BBDBD32
	v_mul_f32_e32 v223, v50, v223                              // 00000001CAE0: 0BBFBF32
	s_waitcnt lgkmcnt(0)                                       // 00000001CAE4: BF8CC07F
	s_barrier                                                  // 00000001CAE8: BF8A0000
	ds_read_b32 v64, v7 offset:16896                           // 00000001CAEC: D86C4200 40000007
	ds_read_b32 v65, v7 offset:16960                           // 00000001CAF4: D86C4240 41000007
	ds_read_b32 v66, v7 offset:17024                           // 00000001CAFC: D86C4280 42000007
	ds_read_b32 v67, v7 offset:17088                           // 00000001CB04: D86C42C0 43000007
	ds_read_b32 v68, v7 offset:17152                           // 00000001CB0C: D86C4300 44000007
	ds_read_b32 v69, v7 offset:17216                           // 00000001CB14: D86C4340 45000007
	ds_read_b32 v70, v7 offset:17280                           // 00000001CB1C: D86C4380 46000007
	ds_read_b32 v71, v7 offset:17344                           // 00000001CB24: D86C43C0 47000007
	ds_read_b32 v72, v7 offset:17408                           // 00000001CB2C: D86C4400 48000007
	ds_read_b32 v73, v7 offset:17472                           // 00000001CB34: D86C4440 49000007
	ds_read_b32 v74, v7 offset:17536                           // 00000001CB3C: D86C4480 4A000007
	ds_read_b32 v75, v7 offset:17600                           // 00000001CB44: D86C44C0 4B000007
	ds_read_b32 v76, v7 offset:17664                           // 00000001CB4C: D86C4500 4C000007
	ds_read_b32 v77, v7 offset:17728                           // 00000001CB54: D86C4540 4D000007
	ds_read_b32 v78, v7 offset:17792                           // 00000001CB5C: D86C4580 4E000007
	ds_read_b32 v79, v7 offset:17856                           // 00000001CB64: D86C45C0 4F000007
	v_mul_f32_e32 v184, v45, v184                              // 00000001CB6C: 0B71712D
	v_mul_f32_e32 v185, v45, v185                              // 00000001CB70: 0B73732D
	v_mul_f32_e32 v186, v45, v186                              // 00000001CB74: 0B75752D
	v_mul_f32_e32 v187, v45, v187                              // 00000001CB78: 0B77772D
	v_mul_f32_e32 v188, v45, v188                              // 00000001CB7C: 0B79792D
	v_mul_f32_e32 v189, v45, v189                              // 00000001CB80: 0B7B7B2D
	v_mul_f32_e32 v190, v45, v190                              // 00000001CB84: 0B7D7D2D
	v_mul_f32_e32 v191, v45, v191                              // 00000001CB88: 0B7F7F2D
	s_waitcnt lgkmcnt(0)                                       // 00000001CB8C: BF8CC07F
	v_max3_f32 v48, v64, v65, v48                              // 00000001CB90: D1D30030 04C28340
	v_max3_f32 v48, v66, v67, v48                              // 00000001CB98: D1D30030 04C28742
	v_max3_f32 v48, v68, v69, v48                              // 00000001CBA0: D1D30030 04C28B44
	v_max3_f32 v48, v70, v71, v48                              // 00000001CBA8: D1D30030 04C28F46
	v_max3_f32 v48, v72, v73, v48                              // 00000001CBB0: D1D30030 04C29348
	v_max3_f32 v48, v74, v75, v48                              // 00000001CBB8: D1D30030 04C2974A
	v_max3_f32 v48, v76, v77, v48                              // 00000001CBC0: D1D30030 04C29B4C
	v_max3_f32 v48, v78, v79, v48                              // 00000001CBC8: D1D30030 04C29F4E
	v_mov_b32_e32 v64, 0xff800000                              // 00000001CBD0: 7E8002FF FF800000
	v_cmp_eq_u32_e64 s[40:41], v64, v12                        // 00000001CBD8: D0CA0028 00021940
	s_nop 1                                                    // 00000001CBE0: BF800001
	v_max_f32_e32 v15, v48, v12                                // 00000001CBE4: 161E1930
	v_mul_f32_e32 v53, s64, v15                                // 00000001CBE8: 0A6A1E40
	v_fma_f32 v128, v128, s64, -v53                            // 00000001CBEC: D1CB0080 84D48180
	v_fma_f32 v129, v129, s64, -v53                            // 00000001CBF4: D1CB0081 84D48181
	v_fma_f32 v130, v130, s64, -v53                            // 00000001CBFC: D1CB0082 84D48182
	v_fma_f32 v131, v131, s64, -v53                            // 00000001CC04: D1CB0083 84D48183
	v_fma_f32 v132, v132, s64, -v53                            // 00000001CC0C: D1CB0084 84D48184
	v_fma_f32 v133, v133, s64, -v53                            // 00000001CC14: D1CB0085 84D48185
	v_fma_f32 v134, v134, s64, -v53                            // 00000001CC1C: D1CB0086 84D48186
	v_fma_f32 v135, v135, s64, -v53                            // 00000001CC24: D1CB0087 84D48187
	v_fma_f32 v136, v136, s64, -v53                            // 00000001CC2C: D1CB0088 84D48188
	v_fma_f32 v137, v137, s64, -v53                            // 00000001CC34: D1CB0089 84D48189
	v_fma_f32 v138, v138, s64, -v53                            // 00000001CC3C: D1CB008A 84D4818A
	v_fma_f32 v139, v139, s64, -v53                            // 00000001CC44: D1CB008B 84D4818B
	v_fma_f32 v140, v140, s64, -v53                            // 00000001CC4C: D1CB008C 84D4818C
	v_fma_f32 v141, v141, s64, -v53                            // 00000001CC54: D1CB008D 84D4818D
	v_fma_f32 v142, v142, s64, -v53                            // 00000001CC5C: D1CB008E 84D4818E
	v_fma_f32 v143, v143, s64, -v53                            // 00000001CC64: D1CB008F 84D4818F
	v_exp_f32_e32 v128, v128                                   // 00000001CC6C: 7F004180
	v_exp_f32_e32 v129, v129                                   // 00000001CC70: 7F024181
	v_exp_f32_e32 v130, v130                                   // 00000001CC74: 7F044182
	v_exp_f32_e32 v131, v131                                   // 00000001CC78: 7F064183
	v_exp_f32_e32 v132, v132                                   // 00000001CC7C: 7F084184
	v_exp_f32_e32 v133, v133                                   // 00000001CC80: 7F0A4185
	v_exp_f32_e32 v134, v134                                   // 00000001CC84: 7F0C4186
	v_exp_f32_e32 v135, v135                                   // 00000001CC88: 7F0E4187
	v_exp_f32_e32 v136, v136                                   // 00000001CC8C: 7F104188
	v_exp_f32_e32 v137, v137                                   // 00000001CC90: 7F124189
	v_exp_f32_e32 v138, v138                                   // 00000001CC94: 7F14418A
	v_exp_f32_e32 v139, v139                                   // 00000001CC98: 7F16418B
	v_exp_f32_e32 v140, v140                                   // 00000001CC9C: 7F18418C
	v_exp_f32_e32 v141, v141                                   // 00000001CCA0: 7F1A418D
	v_exp_f32_e32 v142, v142                                   // 00000001CCA4: 7F1C418E
	v_exp_f32_e32 v143, v143                                   // 00000001CCA8: 7F1E418F
	v_mul_f32_dpp v240, v252, v128 quad_perm:[0,0,0,0] row_mask:0xf bank_mask:0xf// 00000001CCAC: 0BE100FA FF0000FC
	v_mul_f32_dpp v241, v252, v129 quad_perm:[1,1,1,1] row_mask:0xf bank_mask:0xf// 00000001CCB4: 0BE302FA FF0055FC
	v_mul_f32_dpp v242, v252, v130 quad_perm:[2,2,2,2] row_mask:0xf bank_mask:0xf// 00000001CCBC: 0BE504FA FF00AAFC
	v_mul_f32_dpp v243, v252, v131 quad_perm:[3,3,3,3] row_mask:0xf bank_mask:0xf// 00000001CCC4: 0BE706FA FF00FFFC
	v_mul_f32_dpp v244, v253, v132 quad_perm:[0,0,0,0] row_mask:0xf bank_mask:0xf// 00000001CCCC: 0BE908FA FF0000FD
	v_mul_f32_dpp v245, v253, v133 quad_perm:[1,1,1,1] row_mask:0xf bank_mask:0xf// 00000001CCD4: 0BEB0AFA FF0055FD
	v_mul_f32_dpp v246, v253, v134 quad_perm:[2,2,2,2] row_mask:0xf bank_mask:0xf// 00000001CCDC: 0BED0CFA FF00AAFD
	v_mul_f32_dpp v247, v253, v135 quad_perm:[3,3,3,3] row_mask:0xf bank_mask:0xf// 00000001CCE4: 0BEF0EFA FF00FFFD
	v_mul_f32_dpp v248, v254, v136 quad_perm:[0,0,0,0] row_mask:0xf bank_mask:0xf// 00000001CCEC: 0BF110FA FF0000FE
	v_mul_f32_dpp v249, v254, v137 quad_perm:[1,1,1,1] row_mask:0xf bank_mask:0xf// 00000001CCF4: 0BF312FA FF0055FE
	v_mul_f32_dpp v250, v254, v138 quad_perm:[2,2,2,2] row_mask:0xf bank_mask:0xf// 00000001CCFC: 0BF514FA FF00AAFE
	v_mul_f32_dpp v251, v254, v139 quad_perm:[3,3,3,3] row_mask:0xf bank_mask:0xf// 00000001CD04: 0BF716FA FF00FFFE
	v_mul_f32_dpp v252, v255, v140 quad_perm:[0,0,0,0] row_mask:0xf bank_mask:0xf// 00000001CD0C: 0BF918FA FF0000FF
	v_mul_f32_dpp v253, v255, v141 quad_perm:[1,1,1,1] row_mask:0xf bank_mask:0xf// 00000001CD14: 0BFB1AFA FF0055FF
	v_mul_f32_dpp v254, v255, v142 quad_perm:[2,2,2,2] row_mask:0xf bank_mask:0xf// 00000001CD1C: 0BFD1CFA FF00AAFF
	v_mul_f32_dpp v255, v255, v143 quad_perm:[3,3,3,3] row_mask:0xf bank_mask:0xf// 00000001CD24: 0BFF1EFA FF00FFFF
	v_mov_b32_e32 v48, 0x358637bd                              // 00000001CD2C: 7E6002FF 358637BD
	v_max3_f32 v48, |v240|, |v241|, v48                        // 00000001CD34: D1D30330 04C3E3F0
	v_max3_f32 v48, |v242|, |v243|, v48                        // 00000001CD3C: D1D30330 04C3E7F2
	v_max3_f32 v48, |v244|, |v245|, v48                        // 00000001CD44: D1D30330 04C3EBF4
	v_max3_f32 v48, |v246|, |v247|, v48                        // 00000001CD4C: D1D30330 04C3EFF6
	v_max3_f32 v48, |v248|, |v249|, v48                        // 00000001CD54: D1D30330 04C3F3F8
	v_max3_f32 v48, |v250|, |v251|, v48                        // 00000001CD5C: D1D30330 04C3F7FA
	v_max3_f32 v48, |v252|, |v253|, v48                        // 00000001CD64: D1D30330 04C3FBFC
	v_max3_f32 v48, |v254|, |v255|, v48                        // 00000001CD6C: D1D30330 04C3FFFE
	ds_write_b32 v8, v48 offset:20992                          // 00000001CD74: D81A5200 00003008
	v_sub_f32_e32 v50, v12, v15                                // 00000001CD7C: 04641F0C
	v_cndmask_b32_e64 v50, v50, 0, s[40:41]                    // 00000001CD80: D1000032 00A10132
	v_mov_b32_e32 v12, v15                                     // 00000001CD88: 7E18030F
	v_mul_f32_e32 v50, s64, v50                                // 00000001CD8C: 0A646440
	v_exp_f32_e32 v50, v50                                     // 00000001CD90: 7E644132
	s_waitcnt lgkmcnt(0)                                       // 00000001CD94: BF8CC07F
	s_barrier                                                  // 00000001CD98: BF8A0000
	ds_read_b32 v64, v7 offset:20992                           // 00000001CD9C: D86C5200 40000007
	ds_read_b32 v65, v7 offset:21056                           // 00000001CDA4: D86C5240 41000007
	ds_read_b32 v66, v7 offset:21120                           // 00000001CDAC: D86C5280 42000007
	ds_read_b32 v67, v7 offset:21184                           // 00000001CDB4: D86C52C0 43000007
	ds_read_b32 v68, v7 offset:21248                           // 00000001CDBC: D86C5300 44000007
	ds_read_b32 v69, v7 offset:21312                           // 00000001CDC4: D86C5340 45000007
	ds_read_b32 v70, v7 offset:21376                           // 00000001CDCC: D86C5380 46000007
	ds_read_b32 v71, v7 offset:21440                           // 00000001CDD4: D86C53C0 47000007
	ds_read_b32 v72, v7 offset:21504                           // 00000001CDDC: D86C5400 48000007
	ds_read_b32 v73, v7 offset:21568                           // 00000001CDE4: D86C5440 49000007
	ds_read_b32 v74, v7 offset:21632                           // 00000001CDEC: D86C5480 4A000007
	ds_read_b32 v75, v7 offset:21696                           // 00000001CDF4: D86C54C0 4B000007
	ds_read_b32 v76, v7 offset:21760                           // 00000001CDFC: D86C5500 4C000007
	ds_read_b32 v77, v7 offset:21824                           // 00000001CE04: D86C5540 4D000007
	ds_read_b32 v78, v7 offset:21888                           // 00000001CE0C: D86C5580 4E000007
	ds_read_b32 v79, v7 offset:21952                           // 00000001CE14: D86C55C0 4F000007
	v_mul_f32_e32 v39, v50, v39                                // 00000001CE1C: 0A4E4F32
	v_mov_b32_e32 v15, v128                                    // 00000001CE20: 7E1E0380
	v_add_f32_e32 v15, v129, v15                               // 00000001CE24: 021E1F81
	v_add_f32_e32 v15, v130, v15                               // 00000001CE28: 021E1F82
	v_add_f32_e32 v15, v131, v15                               // 00000001CE2C: 021E1F83
	v_add_f32_e32 v15, v132, v15                               // 00000001CE30: 021E1F84
	v_add_f32_e32 v15, v133, v15                               // 00000001CE34: 021E1F85
	v_add_f32_e32 v15, v134, v15                               // 00000001CE38: 021E1F86
	v_add_f32_e32 v15, v135, v15                               // 00000001CE3C: 021E1F87
	v_add_f32_e32 v15, v136, v15                               // 00000001CE40: 021E1F88
	v_add_f32_e32 v15, v137, v15                               // 00000001CE44: 021E1F89
	v_add_f32_e32 v15, v138, v15                               // 00000001CE48: 021E1F8A
	v_add_f32_e32 v15, v139, v15                               // 00000001CE4C: 021E1F8B
	v_add_f32_e32 v15, v140, v15                               // 00000001CE50: 021E1F8C
	v_add_f32_e32 v15, v141, v15                               // 00000001CE54: 021E1F8D
	v_add_f32_e32 v15, v142, v15                               // 00000001CE58: 021E1F8E
	v_add_f32_e32 v15, v143, v15                               // 00000001CE5C: 021E1F8F
	v_add_f32_e32 v39, v15, v39                                // 00000001CE60: 024E4F0F
	s_waitcnt lgkmcnt(0)                                       // 00000001CE64: BF8CC07F
	v_max3_f32 v48, |v64|, |v65|, v48                          // 00000001CE68: D1D30330 04C28340
	v_max3_f32 v48, |v66|, |v67|, v48                          // 00000001CE70: D1D30330 04C28742
	v_max3_f32 v48, |v68|, |v69|, v48                          // 00000001CE78: D1D30330 04C28B44
	v_max3_f32 v48, |v70|, |v71|, v48                          // 00000001CE80: D1D30330 04C28F46
	v_max3_f32 v48, |v72|, |v73|, v48                          // 00000001CE88: D1D30330 04C29348
	v_max3_f32 v48, |v74|, |v75|, v48                          // 00000001CE90: D1D30330 04C2974A
	v_max3_f32 v48, |v76|, |v77|, v48                          // 00000001CE98: D1D30330 04C29B4C
	v_max3_f32 v48, |v78|, |v79|, v48                          // 00000001CEA0: D1D30330 04C29F4E
	s_nop 2                                                    // 00000001CEA8: BF800002
	v_rcp_f32_e32 v48, v48                                     // 00000001CEAC: 7E604530
	s_nop 1                                                    // 00000001CEB0: BF800001
	v_mul_f32_e32 v48, 0x43e00000, v48                         // 00000001CEB4: 0A6060FF 43E00000
	v_mul_f32_e32 v128, v48, v240                              // 00000001CEBC: 0B01E130
	v_mul_f32_e32 v129, v48, v241                              // 00000001CEC0: 0B03E330
	v_mul_f32_e32 v130, v48, v242                              // 00000001CEC4: 0B05E530
	v_mul_f32_e32 v131, v48, v243                              // 00000001CEC8: 0B07E730
	v_mul_f32_e32 v132, v48, v244                              // 00000001CECC: 0B09E930
	v_mul_f32_e32 v133, v48, v245                              // 00000001CED0: 0B0BEB30
	v_mul_f32_e32 v134, v48, v246                              // 00000001CED4: 0B0DED30
	v_mul_f32_e32 v135, v48, v247                              // 00000001CED8: 0B0FEF30
	v_mul_f32_e32 v136, v48, v248                              // 00000001CEDC: 0B11F130
	v_mul_f32_e32 v137, v48, v249                              // 00000001CEE0: 0B13F330
	v_mul_f32_e32 v138, v48, v250                              // 00000001CEE4: 0B15F530
	v_mul_f32_e32 v139, v48, v251                              // 00000001CEE8: 0B17F730
	v_mul_f32_e32 v140, v48, v252                              // 00000001CEEC: 0B19F930
	v_mul_f32_e32 v141, v48, v253                              // 00000001CEF0: 0B1BFB30
	v_mul_f32_e32 v142, v48, v254                              // 00000001CEF4: 0B1DFD30
	v_mul_f32_e32 v143, v48, v255                              // 00000001CEF8: 0B1FFF30
	v_cvt_pk_fp8_f32 v128, v128, v129                          // 00000001CEFC: D2A20080 00030380
	v_cvt_pk_fp8_f32 v128, v130, v131 op_sel:[0,0,1]           // 00000001CF04: D2A24080 00030782
	v_cvt_pk_fp8_f32 v129, v132, v133                          // 00000001CF0C: D2A20081 00030B84
	v_cvt_pk_fp8_f32 v129, v134, v135 op_sel:[0,0,1]           // 00000001CF14: D2A24081 00030F86
	v_cvt_pk_fp8_f32 v130, v136, v137                          // 00000001CF1C: D2A20082 00031388
	v_cvt_pk_fp8_f32 v130, v138, v139 op_sel:[0,0,1]           // 00000001CF24: D2A24082 0003178A
	v_cvt_pk_fp8_f32 v131, v140, v141                          // 00000001CF2C: D2A20083 00031B8C
	v_cvt_pk_fp8_f32 v131, v142, v143 op_sel:[0,0,1]           // 00000001CF34: D2A24083 00031F8E
	ds_write_b32 v10, v128 offset:29184                        // 00000001CF3C: D81A7200 0000800A
	ds_write_b32 v10, v129 offset:30208                        // 00000001CF44: D81A7600 0000810A
	ds_write_b32 v10, v130 offset:31232                        // 00000001CF4C: D81A7A00 0000820A
	ds_write_b32 v10, v131 offset:32256                        // 00000001CF54: D81A7E00 0000830A
	v_add_f32_e32 v216, v216, v184                             // 00000001CF5C: 03B171D8
	v_add_f32_e32 v217, v217, v185                             // 00000001CF60: 03B373D9
	v_add_f32_e32 v218, v218, v186                             // 00000001CF64: 03B575DA
	v_add_f32_e32 v219, v219, v187                             // 00000001CF68: 03B777DB
	v_add_f32_e32 v220, v220, v188                             // 00000001CF6C: 03B979DC
	v_add_f32_e32 v221, v221, v189                             // 00000001CF70: 03BB7BDD
	v_add_f32_e32 v222, v222, v190                             // 00000001CF74: 03BD7DDE
	v_add_f32_e32 v223, v223, v191                             // 00000001CF78: 03BF7FDF
	v_rcp_f32_e32 v45, v48                                     // 00000001CF7C: 7E5A4530
	s_waitcnt lgkmcnt(0)                                       // 00000001CF80: BF8CC07F
	s_barrier                                                  // 00000001CF84: BF8A0000
	ds_read_b64 v[128:129], v9 offset:29184                    // 00000001CF88: D8EC7200 80000009
	ds_read_b64 v[130:131], v9 offset:29312                    // 00000001CF90: D8EC7280 82000009
	ds_read_b64 v[132:133], v9 offset:30208                    // 00000001CF98: D8EC7600 84000009
	ds_read_b64 v[134:135], v9 offset:30336                    // 00000001CFA0: D8EC7680 86000009
	ds_read_b64 v[136:137], v9 offset:31232                    // 00000001CFA8: D8EC7A00 88000009
	ds_read_b64 v[138:139], v9 offset:31360                    // 00000001CFB0: D8EC7A80 8A000009
	ds_read_b64 v[140:141], v9 offset:32256                    // 00000001CFB8: D8EC7E00 8C000009
	ds_read_b64 v[142:143], v9 offset:32384                    // 00000001CFC0: D8EC7E80 8E000009
	v_mov_b32_dpp v64, v43 row_shr:4 row_mask:0xf bank_mask:0xf// 00000001CFC8: 7E8002FA FF01142B
	v_mov_b32_dpp v65, v43 row_shl:4 row_mask:0xf bank_mask:0xf// 00000001CFD0: 7E8202FA FF01042B
	v_cndmask_b32_e64 v248, v43, v64, s[44:45]                 // 00000001CFD8: D10000F8 00B2812B
	v_cndmask_b32_e64 v249, v65, v43, s[44:45]                 // 00000001CFE0: D10000F9 00B25741
	v_mov_b32_dpp v64, v248 row_shr:8 row_mask:0xf bank_mask:0xf// 00000001CFE8: 7E8002FA FF0118F8
	v_mov_b32_dpp v65, v248 row_shl:8 row_mask:0xf bank_mask:0xf// 00000001CFF0: 7E8202FA FF0108F8
	v_mov_b32_dpp v66, v249 row_shr:8 row_mask:0xf bank_mask:0xf// 00000001CFF8: 7E8402FA FF0118F9
	v_mov_b32_dpp v67, v249 row_shl:8 row_mask:0xf bank_mask:0xf// 00000001D000: 7E8602FA FF0108F9
	v_mov_b32_e32 v68, v248                                    // 00000001D008: 7E8803F8
	v_mov_b32_e32 v69, v249                                    // 00000001D00C: 7E8A03F9
	v_cndmask_b32_e64 v248, v68, v64, s[42:43]                 // 00000001D010: D10000F8 00AA8144
	v_cndmask_b32_e64 v250, v68, v65, s[78:79]                 // 00000001D018: D10000FA 013A8344
	v_cndmask_b32_e64 v249, v69, v66, s[42:43]                 // 00000001D020: D10000F9 00AA8545
	v_cndmask_b32_e64 v251, v69, v67, s[78:79]                 // 00000001D028: D10000FB 013A8745
	v_mov_b32_dpp v64, v58 row_shr:4 row_mask:0xf bank_mask:0xf// 00000001D030: 7E8002FA FF01143A
	v_mov_b32_dpp v65, v58 row_shl:4 row_mask:0xf bank_mask:0xf// 00000001D038: 7E8202FA FF01043A
	v_cndmask_b32_e64 v252, v58, v64, s[44:45]                 // 00000001D040: D10000FC 00B2813A
	v_cndmask_b32_e64 v253, v65, v58, s[44:45]                 // 00000001D048: D10000FD 00B27541
	v_mov_b32_dpp v64, v252 row_shr:8 row_mask:0xf bank_mask:0xf// 00000001D050: 7E8002FA FF0118FC
	v_mov_b32_dpp v65, v252 row_shl:8 row_mask:0xf bank_mask:0xf// 00000001D058: 7E8202FA FF0108FC
	v_mov_b32_dpp v66, v253 row_shr:8 row_mask:0xf bank_mask:0xf// 00000001D060: 7E8402FA FF0118FD
	v_mov_b32_dpp v67, v253 row_shl:8 row_mask:0xf bank_mask:0xf// 00000001D068: 7E8602FA FF0108FD
	v_mov_b32_e32 v68, v252                                    // 00000001D070: 7E8803FC
	v_mov_b32_e32 v69, v253                                    // 00000001D074: 7E8A03FD
	v_cndmask_b32_e64 v252, v68, v64, s[42:43]                 // 00000001D078: D10000FC 00AA8144
	v_cndmask_b32_e64 v254, v68, v65, s[78:79]                 // 00000001D080: D10000FE 013A8344
	v_cndmask_b32_e64 v253, v69, v66, s[42:43]                 // 00000001D088: D10000FD 00AA8545
	v_cndmask_b32_e64 v255, v69, v67, s[78:79]                 // 00000001D090: D10000FF 013A8745
	v_mul_f32_e32 v144, v20, v144                              // 00000001D098: 0B212114
	v_mul_f32_e32 v145, v20, v145                              // 00000001D09C: 0B232314
	v_mul_f32_e32 v146, v20, v146                              // 00000001D0A0: 0B252514
	v_mul_f32_e32 v147, v20, v147                              // 00000001D0A4: 0B272714
	v_mul_f32_e32 v148, v20, v148                              // 00000001D0A8: 0B292914
	v_mul_f32_e32 v149, v20, v149                              // 00000001D0AC: 0B2B2B14
	v_mul_f32_e32 v150, v20, v150                              // 00000001D0B0: 0B2D2D14
	v_mul_f32_e32 v151, v20, v151                              // 00000001D0B4: 0B2F2F14
	v_mul_f32_e32 v152, v20, v152                              // 00000001D0B8: 0B313114
	v_mul_f32_e32 v153, v20, v153                              // 00000001D0BC: 0B333314
	v_mul_f32_e32 v154, v20, v154                              // 00000001D0C0: 0B353514
	v_mul_f32_e32 v155, v20, v155                              // 00000001D0C4: 0B373714
	v_mul_f32_e32 v156, v20, v156                              // 00000001D0C8: 0B393914
	v_mul_f32_e32 v157, v20, v157                              // 00000001D0CC: 0B3B3B14
	v_mul_f32_e32 v158, v20, v158                              // 00000001D0D0: 0B3D3D14
	v_mul_f32_e32 v159, v20, v159                              // 00000001D0D4: 0B3F3F14
	v_mul_f32_dpp v144, v248, v144 quad_perm:[0,0,0,0] row_mask:0xf bank_mask:0xf// 00000001D0D8: 0B2120FA FF0000F8
	v_mul_f32_dpp v145, v248, v145 quad_perm:[1,1,1,1] row_mask:0xf bank_mask:0xf// 00000001D0E0: 0B2322FA FF0055F8
	v_mul_f32_dpp v146, v248, v146 quad_perm:[2,2,2,2] row_mask:0xf bank_mask:0xf// 00000001D0E8: 0B2524FA FF00AAF8
	v_mul_f32_dpp v147, v248, v147 quad_perm:[3,3,3,3] row_mask:0xf bank_mask:0xf// 00000001D0F0: 0B2726FA FF00FFF8
	v_mul_f32_dpp v148, v249, v148 quad_perm:[0,0,0,0] row_mask:0xf bank_mask:0xf// 00000001D0F8: 0B2928FA FF0000F9
	v_mul_f32_dpp v149, v249, v149 quad_perm:[1,1,1,1] row_mask:0xf bank_mask:0xf// 00000001D100: 0B2B2AFA FF0055F9
	v_mul_f32_dpp v150, v249, v150 quad_perm:[2,2,2,2] row_mask:0xf bank_mask:0xf// 00000001D108: 0B2D2CFA FF00AAF9
	v_mul_f32_dpp v151, v249, v151 quad_perm:[3,3,3,3] row_mask:0xf bank_mask:0xf// 00000001D110: 0B2F2EFA FF00FFF9
	v_mul_f32_dpp v152, v250, v152 quad_perm:[0,0,0,0] row_mask:0xf bank_mask:0xf// 00000001D118: 0B3130FA FF0000FA
	v_mul_f32_dpp v153, v250, v153 quad_perm:[1,1,1,1] row_mask:0xf bank_mask:0xf// 00000001D120: 0B3332FA FF0055FA
	v_mul_f32_dpp v154, v250, v154 quad_perm:[2,2,2,2] row_mask:0xf bank_mask:0xf// 00000001D128: 0B3534FA FF00AAFA
	v_mul_f32_dpp v155, v250, v155 quad_perm:[3,3,3,3] row_mask:0xf bank_mask:0xf// 00000001D130: 0B3736FA FF00FFFA
	v_mul_f32_dpp v156, v251, v156 quad_perm:[0,0,0,0] row_mask:0xf bank_mask:0xf// 00000001D138: 0B3938FA FF0000FB
	v_mul_f32_dpp v157, v251, v157 quad_perm:[1,1,1,1] row_mask:0xf bank_mask:0xf// 00000001D140: 0B3B3AFA FF0055FB
	v_mul_f32_dpp v158, v251, v158 quad_perm:[2,2,2,2] row_mask:0xf bank_mask:0xf// 00000001D148: 0B3D3CFA FF00AAFB
	v_mul_f32_dpp v159, v251, v159 quad_perm:[3,3,3,3] row_mask:0xf bank_mask:0xf// 00000001D150: 0B3F3EFA FF00FFFB
	v_mov_b32_e32 v48, v144                                    // 00000001D158: 7E600390
	v_max3_f32 v48, v144, v145, v48                            // 00000001D15C: D1D30030 04C32390
	v_max3_f32 v48, v146, v147, v48                            // 00000001D164: D1D30030 04C32792
	v_max3_f32 v48, v148, v149, v48                            // 00000001D16C: D1D30030 04C32B94
	v_max3_f32 v48, v150, v151, v48                            // 00000001D174: D1D30030 04C32F96
	v_max3_f32 v48, v152, v153, v48                            // 00000001D17C: D1D30030 04C33398
	v_max3_f32 v48, v154, v155, v48                            // 00000001D184: D1D30030 04C3379A
	v_max3_f32 v48, v156, v157, v48                            // 00000001D18C: D1D30030 04C33B9C
	v_max3_f32 v48, v158, v159, v48                            // 00000001D194: D1D30030 04C33F9E
	ds_write_b32 v8, v48 offset:16896                          // 00000001D19C: D81A4200 00003008
	v_mul_f32_e32 v224, v51, v224                              // 00000001D1A4: 0BC1C133
	v_mul_f32_e32 v225, v51, v225                              // 00000001D1A8: 0BC3C333
	v_mul_f32_e32 v226, v51, v226                              // 00000001D1AC: 0BC5C533
	v_mul_f32_e32 v227, v51, v227                              // 00000001D1B0: 0BC7C733
	v_mul_f32_e32 v228, v51, v228                              // 00000001D1B4: 0BC9C933
	v_mul_f32_e32 v229, v51, v229                              // 00000001D1B8: 0BCBCB33
	v_mul_f32_e32 v230, v51, v230                              // 00000001D1BC: 0BCDCD33
	v_mul_f32_e32 v231, v51, v231                              // 00000001D1C0: 0BCFCF33
	s_waitcnt lgkmcnt(0)                                       // 00000001D1C4: BF8CC07F
	s_barrier                                                  // 00000001D1C8: BF8A0000
	ds_read_b32 v64, v7 offset:16896                           // 00000001D1CC: D86C4200 40000007
	ds_read_b32 v65, v7 offset:16960                           // 00000001D1D4: D86C4240 41000007
	ds_read_b32 v66, v7 offset:17024                           // 00000001D1DC: D86C4280 42000007
	ds_read_b32 v67, v7 offset:17088                           // 00000001D1E4: D86C42C0 43000007
	ds_read_b32 v68, v7 offset:17152                           // 00000001D1EC: D86C4300 44000007
	ds_read_b32 v69, v7 offset:17216                           // 00000001D1F4: D86C4340 45000007
	ds_read_b32 v70, v7 offset:17280                           // 00000001D1FC: D86C4380 46000007
	ds_read_b32 v71, v7 offset:17344                           // 00000001D204: D86C43C0 47000007
	ds_read_b32 v72, v7 offset:17408                           // 00000001D20C: D86C4400 48000007
	ds_read_b32 v73, v7 offset:17472                           // 00000001D214: D86C4440 49000007
	ds_read_b32 v74, v7 offset:17536                           // 00000001D21C: D86C4480 4A000007
	ds_read_b32 v75, v7 offset:17600                           // 00000001D224: D86C44C0 4B000007
	ds_read_b32 v76, v7 offset:17664                           // 00000001D22C: D86C4500 4C000007
	ds_read_b32 v77, v7 offset:17728                           // 00000001D234: D86C4540 4D000007
	ds_read_b32 v78, v7 offset:17792                           // 00000001D23C: D86C4580 4E000007
	ds_read_b32 v79, v7 offset:17856                           // 00000001D244: D86C45C0 4F000007
	v_mul_f32_e32 v192, v46, v192                              // 00000001D24C: 0B81812E
	v_mul_f32_e32 v193, v46, v193                              // 00000001D250: 0B83832E
	v_mul_f32_e32 v194, v46, v194                              // 00000001D254: 0B85852E
	v_mul_f32_e32 v195, v46, v195                              // 00000001D258: 0B87872E
	v_mul_f32_e32 v196, v46, v196                              // 00000001D25C: 0B89892E
	v_mul_f32_e32 v197, v46, v197                              // 00000001D260: 0B8B8B2E
	v_mul_f32_e32 v198, v46, v198                              // 00000001D264: 0B8D8D2E
	v_mul_f32_e32 v199, v46, v199                              // 00000001D268: 0B8F8F2E
	s_waitcnt lgkmcnt(0)                                       // 00000001D26C: BF8CC07F
	v_max3_f32 v48, v64, v65, v48                              // 00000001D270: D1D30030 04C28340
	v_max3_f32 v48, v66, v67, v48                              // 00000001D278: D1D30030 04C28742
	v_max3_f32 v48, v68, v69, v48                              // 00000001D280: D1D30030 04C28B44
	v_max3_f32 v48, v70, v71, v48                              // 00000001D288: D1D30030 04C28F46
	v_max3_f32 v48, v72, v73, v48                              // 00000001D290: D1D30030 04C29348
	v_max3_f32 v48, v74, v75, v48                              // 00000001D298: D1D30030 04C2974A
	v_max3_f32 v48, v76, v77, v48                              // 00000001D2A0: D1D30030 04C29B4C
	v_max3_f32 v48, v78, v79, v48                              // 00000001D2A8: D1D30030 04C29F4E
	v_mov_b32_e32 v64, 0xff800000                              // 00000001D2B0: 7E8002FF FF800000
	v_cmp_eq_u32_e64 s[40:41], v64, v13                        // 00000001D2B8: D0CA0028 00021B40
	s_nop 1                                                    // 00000001D2C0: BF800001
	v_max_f32_e32 v15, v48, v13                                // 00000001D2C4: 161E1B30
	v_mul_f32_e32 v53, s64, v15                                // 00000001D2C8: 0A6A1E40
	v_fma_f32 v144, v144, s64, -v53                            // 00000001D2CC: D1CB0090 84D48190
	v_fma_f32 v145, v145, s64, -v53                            // 00000001D2D4: D1CB0091 84D48191
	v_fma_f32 v146, v146, s64, -v53                            // 00000001D2DC: D1CB0092 84D48192
	v_fma_f32 v147, v147, s64, -v53                            // 00000001D2E4: D1CB0093 84D48193
	v_fma_f32 v148, v148, s64, -v53                            // 00000001D2EC: D1CB0094 84D48194
	v_fma_f32 v149, v149, s64, -v53                            // 00000001D2F4: D1CB0095 84D48195
	v_fma_f32 v150, v150, s64, -v53                            // 00000001D2FC: D1CB0096 84D48196
	v_fma_f32 v151, v151, s64, -v53                            // 00000001D304: D1CB0097 84D48197
	v_fma_f32 v152, v152, s64, -v53                            // 00000001D30C: D1CB0098 84D48198
	v_fma_f32 v153, v153, s64, -v53                            // 00000001D314: D1CB0099 84D48199
	v_fma_f32 v154, v154, s64, -v53                            // 00000001D31C: D1CB009A 84D4819A
	v_fma_f32 v155, v155, s64, -v53                            // 00000001D324: D1CB009B 84D4819B
	v_fma_f32 v156, v156, s64, -v53                            // 00000001D32C: D1CB009C 84D4819C
	v_fma_f32 v157, v157, s64, -v53                            // 00000001D334: D1CB009D 84D4819D
	v_fma_f32 v158, v158, s64, -v53                            // 00000001D33C: D1CB009E 84D4819E
	v_fma_f32 v159, v159, s64, -v53                            // 00000001D344: D1CB009F 84D4819F
	v_exp_f32_e32 v144, v144                                   // 00000001D34C: 7F204190
	v_exp_f32_e32 v145, v145                                   // 00000001D350: 7F224191
	v_exp_f32_e32 v146, v146                                   // 00000001D354: 7F244192
	v_exp_f32_e32 v147, v147                                   // 00000001D358: 7F264193
	v_exp_f32_e32 v148, v148                                   // 00000001D35C: 7F284194
	v_exp_f32_e32 v149, v149                                   // 00000001D360: 7F2A4195
	v_exp_f32_e32 v150, v150                                   // 00000001D364: 7F2C4196
	v_exp_f32_e32 v151, v151                                   // 00000001D368: 7F2E4197
	v_exp_f32_e32 v152, v152                                   // 00000001D36C: 7F304198
	v_exp_f32_e32 v153, v153                                   // 00000001D370: 7F324199
	v_exp_f32_e32 v154, v154                                   // 00000001D374: 7F34419A
	v_exp_f32_e32 v155, v155                                   // 00000001D378: 7F36419B
	v_exp_f32_e32 v156, v156                                   // 00000001D37C: 7F38419C
	v_exp_f32_e32 v157, v157                                   // 00000001D380: 7F3A419D
	v_exp_f32_e32 v158, v158                                   // 00000001D384: 7F3C419E
	v_exp_f32_e32 v159, v159                                   // 00000001D388: 7F3E419F
	v_mul_f32_dpp v240, v252, v144 quad_perm:[0,0,0,0] row_mask:0xf bank_mask:0xf// 00000001D38C: 0BE120FA FF0000FC
	v_mul_f32_dpp v241, v252, v145 quad_perm:[1,1,1,1] row_mask:0xf bank_mask:0xf// 00000001D394: 0BE322FA FF0055FC
	v_mul_f32_dpp v242, v252, v146 quad_perm:[2,2,2,2] row_mask:0xf bank_mask:0xf// 00000001D39C: 0BE524FA FF00AAFC
	v_mul_f32_dpp v243, v252, v147 quad_perm:[3,3,3,3] row_mask:0xf bank_mask:0xf// 00000001D3A4: 0BE726FA FF00FFFC
	v_mul_f32_dpp v244, v253, v148 quad_perm:[0,0,0,0] row_mask:0xf bank_mask:0xf// 00000001D3AC: 0BE928FA FF0000FD
	v_mul_f32_dpp v245, v253, v149 quad_perm:[1,1,1,1] row_mask:0xf bank_mask:0xf// 00000001D3B4: 0BEB2AFA FF0055FD
	v_mul_f32_dpp v246, v253, v150 quad_perm:[2,2,2,2] row_mask:0xf bank_mask:0xf// 00000001D3BC: 0BED2CFA FF00AAFD
	v_mul_f32_dpp v247, v253, v151 quad_perm:[3,3,3,3] row_mask:0xf bank_mask:0xf// 00000001D3C4: 0BEF2EFA FF00FFFD
	v_mul_f32_dpp v248, v254, v152 quad_perm:[0,0,0,0] row_mask:0xf bank_mask:0xf// 00000001D3CC: 0BF130FA FF0000FE
	v_mul_f32_dpp v249, v254, v153 quad_perm:[1,1,1,1] row_mask:0xf bank_mask:0xf// 00000001D3D4: 0BF332FA FF0055FE
	v_mul_f32_dpp v250, v254, v154 quad_perm:[2,2,2,2] row_mask:0xf bank_mask:0xf// 00000001D3DC: 0BF534FA FF00AAFE
	v_mul_f32_dpp v251, v254, v155 quad_perm:[3,3,3,3] row_mask:0xf bank_mask:0xf// 00000001D3E4: 0BF736FA FF00FFFE
	v_mul_f32_dpp v252, v255, v156 quad_perm:[0,0,0,0] row_mask:0xf bank_mask:0xf// 00000001D3EC: 0BF938FA FF0000FF
	v_mul_f32_dpp v253, v255, v157 quad_perm:[1,1,1,1] row_mask:0xf bank_mask:0xf// 00000001D3F4: 0BFB3AFA FF0055FF
	v_mul_f32_dpp v254, v255, v158 quad_perm:[2,2,2,2] row_mask:0xf bank_mask:0xf// 00000001D3FC: 0BFD3CFA FF00AAFF
	v_mul_f32_dpp v255, v255, v159 quad_perm:[3,3,3,3] row_mask:0xf bank_mask:0xf// 00000001D404: 0BFF3EFA FF00FFFF
	v_mov_b32_e32 v48, 0x358637bd                              // 00000001D40C: 7E6002FF 358637BD
	v_max3_f32 v48, |v240|, |v241|, v48                        // 00000001D414: D1D30330 04C3E3F0
	v_max3_f32 v48, |v242|, |v243|, v48                        // 00000001D41C: D1D30330 04C3E7F2
	v_max3_f32 v48, |v244|, |v245|, v48                        // 00000001D424: D1D30330 04C3EBF4
	v_max3_f32 v48, |v246|, |v247|, v48                        // 00000001D42C: D1D30330 04C3EFF6
	v_max3_f32 v48, |v248|, |v249|, v48                        // 00000001D434: D1D30330 04C3F3F8
	v_max3_f32 v48, |v250|, |v251|, v48                        // 00000001D43C: D1D30330 04C3F7FA
	v_max3_f32 v48, |v252|, |v253|, v48                        // 00000001D444: D1D30330 04C3FBFC
	v_max3_f32 v48, |v254|, |v255|, v48                        // 00000001D44C: D1D30330 04C3FFFE
	ds_write_b32 v8, v48 offset:20992                          // 00000001D454: D81A5200 00003008
	v_sub_f32_e32 v51, v13, v15                                // 00000001D45C: 04661F0D
	v_cndmask_b32_e64 v51, v51, 0, s[40:41]                    // 00000001D460: D1000033 00A10133
	v_mov_b32_e32 v13, v15                                     // 00000001D468: 7E1A030F
	v_mul_f32_e32 v51, s64, v51                                // 00000001D46C: 0A666640
	v_exp_f32_e32 v51, v51                                     // 00000001D470: 7E664133
	s_waitcnt lgkmcnt(0)                                       // 00000001D474: BF8CC07F
	s_barrier                                                  // 00000001D478: BF8A0000
	ds_read_b32 v64, v7 offset:20992                           // 00000001D47C: D86C5200 40000007
	ds_read_b32 v65, v7 offset:21056                           // 00000001D484: D86C5240 41000007
	ds_read_b32 v66, v7 offset:21120                           // 00000001D48C: D86C5280 42000007
	ds_read_b32 v67, v7 offset:21184                           // 00000001D494: D86C52C0 43000007
	ds_read_b32 v68, v7 offset:21248                           // 00000001D49C: D86C5300 44000007
	ds_read_b32 v69, v7 offset:21312                           // 00000001D4A4: D86C5340 45000007
	ds_read_b32 v70, v7 offset:21376                           // 00000001D4AC: D86C5380 46000007
	ds_read_b32 v71, v7 offset:21440                           // 00000001D4B4: D86C53C0 47000007
	ds_read_b32 v72, v7 offset:21504                           // 00000001D4BC: D86C5400 48000007
	ds_read_b32 v73, v7 offset:21568                           // 00000001D4C4: D86C5440 49000007
	ds_read_b32 v74, v7 offset:21632                           // 00000001D4CC: D86C5480 4A000007
	ds_read_b32 v75, v7 offset:21696                           // 00000001D4D4: D86C54C0 4B000007
	ds_read_b32 v76, v7 offset:21760                           // 00000001D4DC: D86C5500 4C000007
	ds_read_b32 v77, v7 offset:21824                           // 00000001D4E4: D86C5540 4D000007
	ds_read_b32 v78, v7 offset:21888                           // 00000001D4EC: D86C5580 4E000007
	ds_read_b32 v79, v7 offset:21952                           // 00000001D4F4: D86C55C0 4F000007
	v_mul_f32_e32 v40, v51, v40                                // 00000001D4FC: 0A505133
	v_mov_b32_e32 v15, v144                                    // 00000001D500: 7E1E0390
	v_add_f32_e32 v15, v145, v15                               // 00000001D504: 021E1F91
	v_add_f32_e32 v15, v146, v15                               // 00000001D508: 021E1F92
	v_add_f32_e32 v15, v147, v15                               // 00000001D50C: 021E1F93
	v_add_f32_e32 v15, v148, v15                               // 00000001D510: 021E1F94
	v_add_f32_e32 v15, v149, v15                               // 00000001D514: 021E1F95
	v_add_f32_e32 v15, v150, v15                               // 00000001D518: 021E1F96
	v_add_f32_e32 v15, v151, v15                               // 00000001D51C: 021E1F97
	v_add_f32_e32 v15, v152, v15                               // 00000001D520: 021E1F98
	v_add_f32_e32 v15, v153, v15                               // 00000001D524: 021E1F99
	v_add_f32_e32 v15, v154, v15                               // 00000001D528: 021E1F9A
	v_add_f32_e32 v15, v155, v15                               // 00000001D52C: 021E1F9B
	v_add_f32_e32 v15, v156, v15                               // 00000001D530: 021E1F9C
	v_add_f32_e32 v15, v157, v15                               // 00000001D534: 021E1F9D
	v_add_f32_e32 v15, v158, v15                               // 00000001D538: 021E1F9E
	v_add_f32_e32 v15, v159, v15                               // 00000001D53C: 021E1F9F
	v_add_f32_e32 v40, v15, v40                                // 00000001D540: 0250510F
	s_waitcnt lgkmcnt(0)                                       // 00000001D544: BF8CC07F
	v_max3_f32 v48, |v64|, |v65|, v48                          // 00000001D548: D1D30330 04C28340
	v_max3_f32 v48, |v66|, |v67|, v48                          // 00000001D550: D1D30330 04C28742
	v_max3_f32 v48, |v68|, |v69|, v48                          // 00000001D558: D1D30330 04C28B44
	v_max3_f32 v48, |v70|, |v71|, v48                          // 00000001D560: D1D30330 04C28F46
	v_max3_f32 v48, |v72|, |v73|, v48                          // 00000001D568: D1D30330 04C29348
	v_max3_f32 v48, |v74|, |v75|, v48                          // 00000001D570: D1D30330 04C2974A
	v_max3_f32 v48, |v76|, |v77|, v48                          // 00000001D578: D1D30330 04C29B4C
	v_max3_f32 v48, |v78|, |v79|, v48                          // 00000001D580: D1D30330 04C29F4E
	s_nop 2                                                    // 00000001D588: BF800002
	v_rcp_f32_e32 v48, v48                                     // 00000001D58C: 7E604530
	s_nop 1                                                    // 00000001D590: BF800001
	v_mul_f32_e32 v48, 0x43e00000, v48                         // 00000001D594: 0A6060FF 43E00000
	v_mul_f32_e32 v144, v48, v240                              // 00000001D59C: 0B21E130
	v_mul_f32_e32 v145, v48, v241                              // 00000001D5A0: 0B23E330
	v_mul_f32_e32 v146, v48, v242                              // 00000001D5A4: 0B25E530
	v_mul_f32_e32 v147, v48, v243                              // 00000001D5A8: 0B27E730
	v_mul_f32_e32 v148, v48, v244                              // 00000001D5AC: 0B29E930
	v_mul_f32_e32 v149, v48, v245                              // 00000001D5B0: 0B2BEB30
	v_mul_f32_e32 v150, v48, v246                              // 00000001D5B4: 0B2DED30
	v_mul_f32_e32 v151, v48, v247                              // 00000001D5B8: 0B2FEF30
	v_mul_f32_e32 v152, v48, v248                              // 00000001D5BC: 0B31F130
	v_mul_f32_e32 v153, v48, v249                              // 00000001D5C0: 0B33F330
	v_mul_f32_e32 v154, v48, v250                              // 00000001D5C4: 0B35F530
	v_mul_f32_e32 v155, v48, v251                              // 00000001D5C8: 0B37F730
	v_mul_f32_e32 v156, v48, v252                              // 00000001D5CC: 0B39F930
	v_mul_f32_e32 v157, v48, v253                              // 00000001D5D0: 0B3BFB30
	v_mul_f32_e32 v158, v48, v254                              // 00000001D5D4: 0B3DFD30
	v_mul_f32_e32 v159, v48, v255                              // 00000001D5D8: 0B3FFF30
	v_cvt_pk_fp8_f32 v144, v144, v145                          // 00000001D5DC: D2A20090 00032390
	v_cvt_pk_fp8_f32 v144, v146, v147 op_sel:[0,0,1]           // 00000001D5E4: D2A24090 00032792
	v_cvt_pk_fp8_f32 v145, v148, v149                          // 00000001D5EC: D2A20091 00032B94
	v_cvt_pk_fp8_f32 v145, v150, v151 op_sel:[0,0,1]           // 00000001D5F4: D2A24091 00032F96
	v_cvt_pk_fp8_f32 v146, v152, v153                          // 00000001D5FC: D2A20092 00033398
	v_cvt_pk_fp8_f32 v146, v154, v155 op_sel:[0,0,1]           // 00000001D604: D2A24092 0003379A
	v_cvt_pk_fp8_f32 v147, v156, v157                          // 00000001D60C: D2A20093 00033B9C
	v_cvt_pk_fp8_f32 v147, v158, v159 op_sel:[0,0,1]           // 00000001D614: D2A24093 00033F9E
	ds_write_b32 v10, v144 offset:33280                        // 00000001D61C: D81A8200 0000900A
	ds_write_b32 v10, v145 offset:34304                        // 00000001D624: D81A8600 0000910A
	ds_write_b32 v10, v146 offset:35328                        // 00000001D62C: D81A8A00 0000920A
	ds_write_b32 v10, v147 offset:36352                        // 00000001D634: D81A8E00 0000930A
	v_add_f32_e32 v224, v224, v192                             // 00000001D63C: 03C181E0
	v_add_f32_e32 v225, v225, v193                             // 00000001D640: 03C383E1
	v_add_f32_e32 v226, v226, v194                             // 00000001D644: 03C585E2
	v_add_f32_e32 v227, v227, v195                             // 00000001D648: 03C787E3
	v_add_f32_e32 v228, v228, v196                             // 00000001D64C: 03C989E4
	v_add_f32_e32 v229, v229, v197                             // 00000001D650: 03CB8BE5
	v_add_f32_e32 v230, v230, v198                             // 00000001D654: 03CD8DE6
	v_add_f32_e32 v231, v231, v199                             // 00000001D658: 03CF8FE7
	v_rcp_f32_e32 v46, v48                                     // 00000001D65C: 7E5C4530
	s_waitcnt lgkmcnt(0)                                       // 00000001D660: BF8CC07F
	s_barrier                                                  // 00000001D664: BF8A0000
	ds_read_b64 v[144:145], v9 offset:33280                    // 00000001D668: D8EC8200 90000009
	ds_read_b64 v[146:147], v9 offset:33408                    // 00000001D670: D8EC8280 92000009
	ds_read_b64 v[148:149], v9 offset:34304                    // 00000001D678: D8EC8600 94000009
	ds_read_b64 v[150:151], v9 offset:34432                    // 00000001D680: D8EC8680 96000009
	ds_read_b64 v[152:153], v9 offset:35328                    // 00000001D688: D8EC8A00 98000009
	ds_read_b64 v[154:155], v9 offset:35456                    // 00000001D690: D8EC8A80 9A000009
	ds_read_b64 v[156:157], v9 offset:36352                    // 00000001D698: D8EC8E00 9C000009
	ds_read_b64 v[158:159], v9 offset:36480                    // 00000001D6A0: D8EC8E80 9E000009
	v_mov_b32_dpp v64, v43 row_shr:4 row_mask:0xf bank_mask:0xf// 00000001D6A8: 7E8002FA FF01142B
	v_mov_b32_dpp v65, v43 row_shl:4 row_mask:0xf bank_mask:0xf// 00000001D6B0: 7E8202FA FF01042B
	v_cndmask_b32_e64 v248, v43, v64, s[44:45]                 // 00000001D6B8: D10000F8 00B2812B
	v_cndmask_b32_e64 v249, v65, v43, s[44:45]                 // 00000001D6C0: D10000F9 00B25741
	v_mov_b32_dpp v64, v248 row_shr:8 row_mask:0xf bank_mask:0xf// 00000001D6C8: 7E8002FA FF0118F8
	v_mov_b32_dpp v65, v248 row_shl:8 row_mask:0xf bank_mask:0xf// 00000001D6D0: 7E8202FA FF0108F8
	v_mov_b32_dpp v66, v249 row_shr:8 row_mask:0xf bank_mask:0xf// 00000001D6D8: 7E8402FA FF0118F9
	v_mov_b32_dpp v67, v249 row_shl:8 row_mask:0xf bank_mask:0xf// 00000001D6E0: 7E8602FA FF0108F9
	v_mov_b32_e32 v68, v248                                    // 00000001D6E8: 7E8803F8
	v_mov_b32_e32 v69, v249                                    // 00000001D6EC: 7E8A03F9
	v_cndmask_b32_e64 v248, v68, v64, s[42:43]                 // 00000001D6F0: D10000F8 00AA8144
	v_cndmask_b32_e64 v250, v68, v65, s[78:79]                 // 00000001D6F8: D10000FA 013A8344
	v_cndmask_b32_e64 v249, v69, v66, s[42:43]                 // 00000001D700: D10000F9 00AA8545
	v_cndmask_b32_e64 v251, v69, v67, s[78:79]                 // 00000001D708: D10000FB 013A8745
	v_mov_b32_dpp v64, v58 row_shr:4 row_mask:0xf bank_mask:0xf// 00000001D710: 7E8002FA FF01143A
	v_mov_b32_dpp v65, v58 row_shl:4 row_mask:0xf bank_mask:0xf// 00000001D718: 7E8202FA FF01043A
	v_cndmask_b32_e64 v252, v58, v64, s[44:45]                 // 00000001D720: D10000FC 00B2813A
	v_cndmask_b32_e64 v253, v65, v58, s[44:45]                 // 00000001D728: D10000FD 00B27541
	v_mov_b32_dpp v64, v252 row_shr:8 row_mask:0xf bank_mask:0xf// 00000001D730: 7E8002FA FF0118FC
	v_mov_b32_dpp v65, v252 row_shl:8 row_mask:0xf bank_mask:0xf// 00000001D738: 7E8202FA FF0108FC
	v_mov_b32_dpp v66, v253 row_shr:8 row_mask:0xf bank_mask:0xf// 00000001D740: 7E8402FA FF0118FD
	v_mov_b32_dpp v67, v253 row_shl:8 row_mask:0xf bank_mask:0xf// 00000001D748: 7E8602FA FF0108FD
	v_mov_b32_e32 v68, v252                                    // 00000001D750: 7E8803FC
	v_mov_b32_e32 v69, v253                                    // 00000001D754: 7E8A03FD
	v_cndmask_b32_e64 v252, v68, v64, s[42:43]                 // 00000001D758: D10000FC 00AA8144
	v_cndmask_b32_e64 v254, v68, v65, s[78:79]                 // 00000001D760: D10000FE 013A8344
	v_cndmask_b32_e64 v253, v69, v66, s[42:43]                 // 00000001D768: D10000FD 00AA8545
	v_cndmask_b32_e64 v255, v69, v67, s[78:79]                 // 00000001D770: D10000FF 013A8745
	v_mul_f32_e32 v160, v21, v160                              // 00000001D778: 0B414115
	v_mul_f32_e32 v161, v21, v161                              // 00000001D77C: 0B434315
	v_mul_f32_e32 v162, v21, v162                              // 00000001D780: 0B454515
	v_mul_f32_e32 v163, v21, v163                              // 00000001D784: 0B474715
	v_mul_f32_e32 v164, v21, v164                              // 00000001D788: 0B494915
	v_mul_f32_e32 v165, v21, v165                              // 00000001D78C: 0B4B4B15
	v_mul_f32_e32 v166, v21, v166                              // 00000001D790: 0B4D4D15
	v_mul_f32_e32 v167, v21, v167                              // 00000001D794: 0B4F4F15
	v_mul_f32_e32 v168, v21, v168                              // 00000001D798: 0B515115
	v_mul_f32_e32 v169, v21, v169                              // 00000001D79C: 0B535315
	v_mul_f32_e32 v170, v21, v170                              // 00000001D7A0: 0B555515
	v_mul_f32_e32 v171, v21, v171                              // 00000001D7A4: 0B575715
	v_mul_f32_e32 v172, v21, v172                              // 00000001D7A8: 0B595915
	v_mul_f32_e32 v173, v21, v173                              // 00000001D7AC: 0B5B5B15
	v_mul_f32_e32 v174, v21, v174                              // 00000001D7B0: 0B5D5D15
	v_mul_f32_e32 v175, v21, v175                              // 00000001D7B4: 0B5F5F15
	v_mul_f32_dpp v160, v248, v160 quad_perm:[0,0,0,0] row_mask:0xf bank_mask:0xf// 00000001D7B8: 0B4140FA FF0000F8
	v_mul_f32_dpp v161, v248, v161 quad_perm:[1,1,1,1] row_mask:0xf bank_mask:0xf// 00000001D7C0: 0B4342FA FF0055F8
	v_mul_f32_dpp v162, v248, v162 quad_perm:[2,2,2,2] row_mask:0xf bank_mask:0xf// 00000001D7C8: 0B4544FA FF00AAF8
	v_mul_f32_dpp v163, v248, v163 quad_perm:[3,3,3,3] row_mask:0xf bank_mask:0xf// 00000001D7D0: 0B4746FA FF00FFF8
	v_mul_f32_dpp v164, v249, v164 quad_perm:[0,0,0,0] row_mask:0xf bank_mask:0xf// 00000001D7D8: 0B4948FA FF0000F9
	v_mul_f32_dpp v165, v249, v165 quad_perm:[1,1,1,1] row_mask:0xf bank_mask:0xf// 00000001D7E0: 0B4B4AFA FF0055F9
	v_mul_f32_dpp v166, v249, v166 quad_perm:[2,2,2,2] row_mask:0xf bank_mask:0xf// 00000001D7E8: 0B4D4CFA FF00AAF9
	v_mul_f32_dpp v167, v249, v167 quad_perm:[3,3,3,3] row_mask:0xf bank_mask:0xf// 00000001D7F0: 0B4F4EFA FF00FFF9
	v_mul_f32_dpp v168, v250, v168 quad_perm:[0,0,0,0] row_mask:0xf bank_mask:0xf// 00000001D7F8: 0B5150FA FF0000FA
	v_mul_f32_dpp v169, v250, v169 quad_perm:[1,1,1,1] row_mask:0xf bank_mask:0xf// 00000001D800: 0B5352FA FF0055FA
	v_mul_f32_dpp v170, v250, v170 quad_perm:[2,2,2,2] row_mask:0xf bank_mask:0xf// 00000001D808: 0B5554FA FF00AAFA
	v_mul_f32_dpp v171, v250, v171 quad_perm:[3,3,3,3] row_mask:0xf bank_mask:0xf// 00000001D810: 0B5756FA FF00FFFA
	v_mul_f32_dpp v172, v251, v172 quad_perm:[0,0,0,0] row_mask:0xf bank_mask:0xf// 00000001D818: 0B5958FA FF0000FB
	v_mul_f32_dpp v173, v251, v173 quad_perm:[1,1,1,1] row_mask:0xf bank_mask:0xf// 00000001D820: 0B5B5AFA FF0055FB
	v_mul_f32_dpp v174, v251, v174 quad_perm:[2,2,2,2] row_mask:0xf bank_mask:0xf// 00000001D828: 0B5D5CFA FF00AAFB
	v_mul_f32_dpp v175, v251, v175 quad_perm:[3,3,3,3] row_mask:0xf bank_mask:0xf// 00000001D830: 0B5F5EFA FF00FFFB
	v_mov_b32_e32 v48, v160                                    // 00000001D838: 7E6003A0
	v_max3_f32 v48, v160, v161, v48                            // 00000001D83C: D1D30030 04C343A0
	v_max3_f32 v48, v162, v163, v48                            // 00000001D844: D1D30030 04C347A2
	v_max3_f32 v48, v164, v165, v48                            // 00000001D84C: D1D30030 04C34BA4
	v_max3_f32 v48, v166, v167, v48                            // 00000001D854: D1D30030 04C34FA6
	v_max3_f32 v48, v168, v169, v48                            // 00000001D85C: D1D30030 04C353A8
	v_max3_f32 v48, v170, v171, v48                            // 00000001D864: D1D30030 04C357AA
	v_max3_f32 v48, v172, v173, v48                            // 00000001D86C: D1D30030 04C35BAC
	v_max3_f32 v48, v174, v175, v48                            // 00000001D874: D1D30030 04C35FAE
	ds_write_b32 v8, v48 offset:16896                          // 00000001D87C: D81A4200 00003008
	v_mul_f32_e32 v232, v52, v232                              // 00000001D884: 0BD1D134
	v_mul_f32_e32 v233, v52, v233                              // 00000001D888: 0BD3D334
	v_mul_f32_e32 v234, v52, v234                              // 00000001D88C: 0BD5D534
	v_mul_f32_e32 v235, v52, v235                              // 00000001D890: 0BD7D734
	v_mul_f32_e32 v236, v52, v236                              // 00000001D894: 0BD9D934
	v_mul_f32_e32 v237, v52, v237                              // 00000001D898: 0BDBDB34
	v_mul_f32_e32 v238, v52, v238                              // 00000001D89C: 0BDDDD34
	v_mul_f32_e32 v239, v52, v239                              // 00000001D8A0: 0BDFDF34
	s_waitcnt lgkmcnt(0)                                       // 00000001D8A4: BF8CC07F
	s_barrier                                                  // 00000001D8A8: BF8A0000
	ds_read_b32 v64, v7 offset:16896                           // 00000001D8AC: D86C4200 40000007
	ds_read_b32 v65, v7 offset:16960                           // 00000001D8B4: D86C4240 41000007
	ds_read_b32 v66, v7 offset:17024                           // 00000001D8BC: D86C4280 42000007
	ds_read_b32 v67, v7 offset:17088                           // 00000001D8C4: D86C42C0 43000007
	ds_read_b32 v68, v7 offset:17152                           // 00000001D8CC: D86C4300 44000007
	ds_read_b32 v69, v7 offset:17216                           // 00000001D8D4: D86C4340 45000007
	ds_read_b32 v70, v7 offset:17280                           // 00000001D8DC: D86C4380 46000007
	ds_read_b32 v71, v7 offset:17344                           // 00000001D8E4: D86C43C0 47000007
	ds_read_b32 v72, v7 offset:17408                           // 00000001D8EC: D86C4400 48000007
	ds_read_b32 v73, v7 offset:17472                           // 00000001D8F4: D86C4440 49000007
	ds_read_b32 v74, v7 offset:17536                           // 00000001D8FC: D86C4480 4A000007
	ds_read_b32 v75, v7 offset:17600                           // 00000001D904: D86C44C0 4B000007
	ds_read_b32 v76, v7 offset:17664                           // 00000001D90C: D86C4500 4C000007
	ds_read_b32 v77, v7 offset:17728                           // 00000001D914: D86C4540 4D000007
	ds_read_b32 v78, v7 offset:17792                           // 00000001D91C: D86C4580 4E000007
	ds_read_b32 v79, v7 offset:17856                           // 00000001D924: D86C45C0 4F000007
	v_mul_f32_e32 v200, v47, v200                              // 00000001D92C: 0B91912F
	v_mul_f32_e32 v201, v47, v201                              // 00000001D930: 0B93932F
	v_mul_f32_e32 v202, v47, v202                              // 00000001D934: 0B95952F
	v_mul_f32_e32 v203, v47, v203                              // 00000001D938: 0B97972F
	v_mul_f32_e32 v204, v47, v204                              // 00000001D93C: 0B99992F
	v_mul_f32_e32 v205, v47, v205                              // 00000001D940: 0B9B9B2F
	v_mul_f32_e32 v206, v47, v206                              // 00000001D944: 0B9D9D2F
	v_mul_f32_e32 v207, v47, v207                              // 00000001D948: 0B9F9F2F
	s_waitcnt lgkmcnt(0)                                       // 00000001D94C: BF8CC07F
	v_max3_f32 v48, v64, v65, v48                              // 00000001D950: D1D30030 04C28340
	v_max3_f32 v48, v66, v67, v48                              // 00000001D958: D1D30030 04C28742
	v_max3_f32 v48, v68, v69, v48                              // 00000001D960: D1D30030 04C28B44
	v_max3_f32 v48, v70, v71, v48                              // 00000001D968: D1D30030 04C28F46
	v_max3_f32 v48, v72, v73, v48                              // 00000001D970: D1D30030 04C29348
	v_max3_f32 v48, v74, v75, v48                              // 00000001D978: D1D30030 04C2974A
	v_max3_f32 v48, v76, v77, v48                              // 00000001D980: D1D30030 04C29B4C
	v_max3_f32 v48, v78, v79, v48                              // 00000001D988: D1D30030 04C29F4E
	v_mov_b32_e32 v64, 0xff800000                              // 00000001D990: 7E8002FF FF800000
	v_cmp_eq_u32_e64 s[40:41], v64, v14                        // 00000001D998: D0CA0028 00021D40
	s_nop 1                                                    // 00000001D9A0: BF800001
	v_max_f32_e32 v15, v48, v14                                // 00000001D9A4: 161E1D30
	v_mul_f32_e32 v53, s64, v15                                // 00000001D9A8: 0A6A1E40
	v_fma_f32 v160, v160, s64, -v53                            // 00000001D9AC: D1CB00A0 84D481A0
	v_fma_f32 v161, v161, s64, -v53                            // 00000001D9B4: D1CB00A1 84D481A1
	v_fma_f32 v162, v162, s64, -v53                            // 00000001D9BC: D1CB00A2 84D481A2
	v_fma_f32 v163, v163, s64, -v53                            // 00000001D9C4: D1CB00A3 84D481A3
	v_fma_f32 v164, v164, s64, -v53                            // 00000001D9CC: D1CB00A4 84D481A4
	v_fma_f32 v165, v165, s64, -v53                            // 00000001D9D4: D1CB00A5 84D481A5
	v_fma_f32 v166, v166, s64, -v53                            // 00000001D9DC: D1CB00A6 84D481A6
	v_fma_f32 v167, v167, s64, -v53                            // 00000001D9E4: D1CB00A7 84D481A7
	v_fma_f32 v168, v168, s64, -v53                            // 00000001D9EC: D1CB00A8 84D481A8
	v_fma_f32 v169, v169, s64, -v53                            // 00000001D9F4: D1CB00A9 84D481A9
	v_fma_f32 v170, v170, s64, -v53                            // 00000001D9FC: D1CB00AA 84D481AA
	v_fma_f32 v171, v171, s64, -v53                            // 00000001DA04: D1CB00AB 84D481AB
	v_fma_f32 v172, v172, s64, -v53                            // 00000001DA0C: D1CB00AC 84D481AC
	v_fma_f32 v173, v173, s64, -v53                            // 00000001DA14: D1CB00AD 84D481AD
	v_fma_f32 v174, v174, s64, -v53                            // 00000001DA1C: D1CB00AE 84D481AE
	v_fma_f32 v175, v175, s64, -v53                            // 00000001DA24: D1CB00AF 84D481AF
	v_exp_f32_e32 v160, v160                                   // 00000001DA2C: 7F4041A0
	v_exp_f32_e32 v161, v161                                   // 00000001DA30: 7F4241A1
	v_exp_f32_e32 v162, v162                                   // 00000001DA34: 7F4441A2
	v_exp_f32_e32 v163, v163                                   // 00000001DA38: 7F4641A3
	v_exp_f32_e32 v164, v164                                   // 00000001DA3C: 7F4841A4
	v_exp_f32_e32 v165, v165                                   // 00000001DA40: 7F4A41A5
	v_exp_f32_e32 v166, v166                                   // 00000001DA44: 7F4C41A6
	v_exp_f32_e32 v167, v167                                   // 00000001DA48: 7F4E41A7
	v_exp_f32_e32 v168, v168                                   // 00000001DA4C: 7F5041A8
	v_exp_f32_e32 v169, v169                                   // 00000001DA50: 7F5241A9
	v_exp_f32_e32 v170, v170                                   // 00000001DA54: 7F5441AA
	v_exp_f32_e32 v171, v171                                   // 00000001DA58: 7F5641AB
	v_exp_f32_e32 v172, v172                                   // 00000001DA5C: 7F5841AC
	v_exp_f32_e32 v173, v173                                   // 00000001DA60: 7F5A41AD
	v_exp_f32_e32 v174, v174                                   // 00000001DA64: 7F5C41AE
	v_exp_f32_e32 v175, v175                                   // 00000001DA68: 7F5E41AF
	v_mul_f32_dpp v240, v252, v160 quad_perm:[0,0,0,0] row_mask:0xf bank_mask:0xf// 00000001DA6C: 0BE140FA FF0000FC
	v_mul_f32_dpp v241, v252, v161 quad_perm:[1,1,1,1] row_mask:0xf bank_mask:0xf// 00000001DA74: 0BE342FA FF0055FC
	v_mul_f32_dpp v242, v252, v162 quad_perm:[2,2,2,2] row_mask:0xf bank_mask:0xf// 00000001DA7C: 0BE544FA FF00AAFC
	v_mul_f32_dpp v243, v252, v163 quad_perm:[3,3,3,3] row_mask:0xf bank_mask:0xf// 00000001DA84: 0BE746FA FF00FFFC
	v_mul_f32_dpp v244, v253, v164 quad_perm:[0,0,0,0] row_mask:0xf bank_mask:0xf// 00000001DA8C: 0BE948FA FF0000FD
	v_mul_f32_dpp v245, v253, v165 quad_perm:[1,1,1,1] row_mask:0xf bank_mask:0xf// 00000001DA94: 0BEB4AFA FF0055FD
	v_mul_f32_dpp v246, v253, v166 quad_perm:[2,2,2,2] row_mask:0xf bank_mask:0xf// 00000001DA9C: 0BED4CFA FF00AAFD
	v_mul_f32_dpp v247, v253, v167 quad_perm:[3,3,3,3] row_mask:0xf bank_mask:0xf// 00000001DAA4: 0BEF4EFA FF00FFFD
	v_mul_f32_dpp v248, v254, v168 quad_perm:[0,0,0,0] row_mask:0xf bank_mask:0xf// 00000001DAAC: 0BF150FA FF0000FE
	v_mul_f32_dpp v249, v254, v169 quad_perm:[1,1,1,1] row_mask:0xf bank_mask:0xf// 00000001DAB4: 0BF352FA FF0055FE
	v_mul_f32_dpp v250, v254, v170 quad_perm:[2,2,2,2] row_mask:0xf bank_mask:0xf// 00000001DABC: 0BF554FA FF00AAFE
	v_mul_f32_dpp v251, v254, v171 quad_perm:[3,3,3,3] row_mask:0xf bank_mask:0xf// 00000001DAC4: 0BF756FA FF00FFFE
	v_mul_f32_dpp v252, v255, v172 quad_perm:[0,0,0,0] row_mask:0xf bank_mask:0xf// 00000001DACC: 0BF958FA FF0000FF
	v_mul_f32_dpp v253, v255, v173 quad_perm:[1,1,1,1] row_mask:0xf bank_mask:0xf// 00000001DAD4: 0BFB5AFA FF0055FF
	v_mul_f32_dpp v254, v255, v174 quad_perm:[2,2,2,2] row_mask:0xf bank_mask:0xf// 00000001DADC: 0BFD5CFA FF00AAFF
	v_mul_f32_dpp v255, v255, v175 quad_perm:[3,3,3,3] row_mask:0xf bank_mask:0xf// 00000001DAE4: 0BFF5EFA FF00FFFF
	v_mov_b32_e32 v48, 0x358637bd                              // 00000001DAEC: 7E6002FF 358637BD
	v_max3_f32 v48, |v240|, |v241|, v48                        // 00000001DAF4: D1D30330 04C3E3F0
	v_max3_f32 v48, |v242|, |v243|, v48                        // 00000001DAFC: D1D30330 04C3E7F2
	v_max3_f32 v48, |v244|, |v245|, v48                        // 00000001DB04: D1D30330 04C3EBF4
	v_max3_f32 v48, |v246|, |v247|, v48                        // 00000001DB0C: D1D30330 04C3EFF6
	v_max3_f32 v48, |v248|, |v249|, v48                        // 00000001DB14: D1D30330 04C3F3F8
	v_max3_f32 v48, |v250|, |v251|, v48                        // 00000001DB1C: D1D30330 04C3F7FA
	v_max3_f32 v48, |v252|, |v253|, v48                        // 00000001DB24: D1D30330 04C3FBFC
	v_max3_f32 v48, |v254|, |v255|, v48                        // 00000001DB2C: D1D30330 04C3FFFE
	ds_write_b32 v8, v48 offset:20992                          // 00000001DB34: D81A5200 00003008
	v_sub_f32_e32 v52, v14, v15                                // 00000001DB3C: 04681F0E
	v_cndmask_b32_e64 v52, v52, 0, s[40:41]                    // 00000001DB40: D1000034 00A10134
	v_mov_b32_e32 v14, v15                                     // 00000001DB48: 7E1C030F
	v_mul_f32_e32 v52, s64, v52                                // 00000001DB4C: 0A686840
	v_exp_f32_e32 v52, v52                                     // 00000001DB50: 7E684134
	s_waitcnt lgkmcnt(0)                                       // 00000001DB54: BF8CC07F
	s_barrier                                                  // 00000001DB58: BF8A0000
	ds_read_b32 v64, v7 offset:20992                           // 00000001DB5C: D86C5200 40000007
	ds_read_b32 v65, v7 offset:21056                           // 00000001DB64: D86C5240 41000007
	ds_read_b32 v66, v7 offset:21120                           // 00000001DB6C: D86C5280 42000007
	ds_read_b32 v67, v7 offset:21184                           // 00000001DB74: D86C52C0 43000007
	ds_read_b32 v68, v7 offset:21248                           // 00000001DB7C: D86C5300 44000007
	ds_read_b32 v69, v7 offset:21312                           // 00000001DB84: D86C5340 45000007
	ds_read_b32 v70, v7 offset:21376                           // 00000001DB8C: D86C5380 46000007
	ds_read_b32 v71, v7 offset:21440                           // 00000001DB94: D86C53C0 47000007
	ds_read_b32 v72, v7 offset:21504                           // 00000001DB9C: D86C5400 48000007
	ds_read_b32 v73, v7 offset:21568                           // 00000001DBA4: D86C5440 49000007
	ds_read_b32 v74, v7 offset:21632                           // 00000001DBAC: D86C5480 4A000007
	ds_read_b32 v75, v7 offset:21696                           // 00000001DBB4: D86C54C0 4B000007
	ds_read_b32 v76, v7 offset:21760                           // 00000001DBBC: D86C5500 4C000007
	ds_read_b32 v77, v7 offset:21824                           // 00000001DBC4: D86C5540 4D000007
	ds_read_b32 v78, v7 offset:21888                           // 00000001DBCC: D86C5580 4E000007
	ds_read_b32 v79, v7 offset:21952                           // 00000001DBD4: D86C55C0 4F000007
	v_mul_f32_e32 v41, v52, v41                                // 00000001DBDC: 0A525334
	v_mov_b32_e32 v15, v160                                    // 00000001DBE0: 7E1E03A0
	v_add_f32_e32 v15, v161, v15                               // 00000001DBE4: 021E1FA1
	v_add_f32_e32 v15, v162, v15                               // 00000001DBE8: 021E1FA2
	v_add_f32_e32 v15, v163, v15                               // 00000001DBEC: 021E1FA3
	v_add_f32_e32 v15, v164, v15                               // 00000001DBF0: 021E1FA4
	v_add_f32_e32 v15, v165, v15                               // 00000001DBF4: 021E1FA5
	v_add_f32_e32 v15, v166, v15                               // 00000001DBF8: 021E1FA6
	v_add_f32_e32 v15, v167, v15                               // 00000001DBFC: 021E1FA7
	v_add_f32_e32 v15, v168, v15                               // 00000001DC00: 021E1FA8
	v_add_f32_e32 v15, v169, v15                               // 00000001DC04: 021E1FA9
	v_add_f32_e32 v15, v170, v15                               // 00000001DC08: 021E1FAA
	v_add_f32_e32 v15, v171, v15                               // 00000001DC0C: 021E1FAB
	v_add_f32_e32 v15, v172, v15                               // 00000001DC10: 021E1FAC
	v_add_f32_e32 v15, v173, v15                               // 00000001DC14: 021E1FAD
	v_add_f32_e32 v15, v174, v15                               // 00000001DC18: 021E1FAE
	v_add_f32_e32 v15, v175, v15                               // 00000001DC1C: 021E1FAF
	v_add_f32_e32 v41, v15, v41                                // 00000001DC20: 0252530F
	s_waitcnt lgkmcnt(0)                                       // 00000001DC24: BF8CC07F
	v_max3_f32 v48, |v64|, |v65|, v48                          // 00000001DC28: D1D30330 04C28340
	v_max3_f32 v48, |v66|, |v67|, v48                          // 00000001DC30: D1D30330 04C28742
	v_max3_f32 v48, |v68|, |v69|, v48                          // 00000001DC38: D1D30330 04C28B44
	v_max3_f32 v48, |v70|, |v71|, v48                          // 00000001DC40: D1D30330 04C28F46
	v_max3_f32 v48, |v72|, |v73|, v48                          // 00000001DC48: D1D30330 04C29348
	v_max3_f32 v48, |v74|, |v75|, v48                          // 00000001DC50: D1D30330 04C2974A
	v_max3_f32 v48, |v76|, |v77|, v48                          // 00000001DC58: D1D30330 04C29B4C
	v_max3_f32 v48, |v78|, |v79|, v48                          // 00000001DC60: D1D30330 04C29F4E
	s_nop 2                                                    // 00000001DC68: BF800002
	v_rcp_f32_e32 v48, v48                                     // 00000001DC6C: 7E604530
	s_nop 1                                                    // 00000001DC70: BF800001
	v_mul_f32_e32 v48, 0x43e00000, v48                         // 00000001DC74: 0A6060FF 43E00000
	v_mul_f32_e32 v160, v48, v240                              // 00000001DC7C: 0B41E130
	v_mul_f32_e32 v161, v48, v241                              // 00000001DC80: 0B43E330
	v_mul_f32_e32 v162, v48, v242                              // 00000001DC84: 0B45E530
	v_mul_f32_e32 v163, v48, v243                              // 00000001DC88: 0B47E730
	v_mul_f32_e32 v164, v48, v244                              // 00000001DC8C: 0B49E930
	v_mul_f32_e32 v165, v48, v245                              // 00000001DC90: 0B4BEB30
	v_mul_f32_e32 v166, v48, v246                              // 00000001DC94: 0B4DED30
	v_mul_f32_e32 v167, v48, v247                              // 00000001DC98: 0B4FEF30
	v_mul_f32_e32 v168, v48, v248                              // 00000001DC9C: 0B51F130
	v_mul_f32_e32 v169, v48, v249                              // 00000001DCA0: 0B53F330
	v_mul_f32_e32 v170, v48, v250                              // 00000001DCA4: 0B55F530
	v_mul_f32_e32 v171, v48, v251                              // 00000001DCA8: 0B57F730
	v_mul_f32_e32 v172, v48, v252                              // 00000001DCAC: 0B59F930
	v_mul_f32_e32 v173, v48, v253                              // 00000001DCB0: 0B5BFB30
	v_mul_f32_e32 v174, v48, v254                              // 00000001DCB4: 0B5DFD30
	v_mul_f32_e32 v175, v48, v255                              // 00000001DCB8: 0B5FFF30
	v_cvt_pk_fp8_f32 v160, v160, v161                          // 00000001DCBC: D2A200A0 000343A0
	v_cvt_pk_fp8_f32 v160, v162, v163 op_sel:[0,0,1]           // 00000001DCC4: D2A240A0 000347A2
	v_cvt_pk_fp8_f32 v161, v164, v165                          // 00000001DCCC: D2A200A1 00034BA4
	v_cvt_pk_fp8_f32 v161, v166, v167 op_sel:[0,0,1]           // 00000001DCD4: D2A240A1 00034FA6
	v_cvt_pk_fp8_f32 v162, v168, v169                          // 00000001DCDC: D2A200A2 000353A8
	v_cvt_pk_fp8_f32 v162, v170, v171 op_sel:[0,0,1]           // 00000001DCE4: D2A240A2 000357AA
	v_cvt_pk_fp8_f32 v163, v172, v173                          // 00000001DCEC: D2A200A3 00035BAC
	v_cvt_pk_fp8_f32 v163, v174, v175 op_sel:[0,0,1]           // 00000001DCF4: D2A240A3 00035FAE
	ds_write_b32 v10, v160 offset:37376                        // 00000001DCFC: D81A9200 0000A00A
	ds_write_b32 v10, v161 offset:38400                        // 00000001DD04: D81A9600 0000A10A
	ds_write_b32 v10, v162 offset:39424                        // 00000001DD0C: D81A9A00 0000A20A
	ds_write_b32 v10, v163 offset:40448                        // 00000001DD14: D81A9E00 0000A30A
	v_add_f32_e32 v232, v232, v200                             // 00000001DD1C: 03D191E8
	v_add_f32_e32 v233, v233, v201                             // 00000001DD20: 03D393E9
	v_add_f32_e32 v234, v234, v202                             // 00000001DD24: 03D595EA
	v_add_f32_e32 v235, v235, v203                             // 00000001DD28: 03D797EB
	v_add_f32_e32 v236, v236, v204                             // 00000001DD2C: 03D999EC
	v_add_f32_e32 v237, v237, v205                             // 00000001DD30: 03DB9BED
	v_add_f32_e32 v238, v238, v206                             // 00000001DD34: 03DD9DEE
	v_add_f32_e32 v239, v239, v207                             // 00000001DD38: 03DF9FEF
	v_rcp_f32_e32 v47, v48                                     // 00000001DD3C: 7E5E4530
	s_waitcnt lgkmcnt(0)                                       // 00000001DD40: BF8CC07F
	s_barrier                                                  // 00000001DD44: BF8A0000
	ds_read_b64 v[160:161], v9 offset:37376                    // 00000001DD48: D8EC9200 A0000009
	ds_read_b64 v[162:163], v9 offset:37504                    // 00000001DD50: D8EC9280 A2000009
	ds_read_b64 v[164:165], v9 offset:38400                    // 00000001DD58: D8EC9600 A4000009
	ds_read_b64 v[166:167], v9 offset:38528                    // 00000001DD60: D8EC9680 A6000009
	ds_read_b64 v[168:169], v9 offset:39424                    // 00000001DD68: D8EC9A00 A8000009
	ds_read_b64 v[170:171], v9 offset:39552                    // 00000001DD70: D8EC9A80 AA000009
	ds_read_b64 v[172:173], v9 offset:40448                    // 00000001DD78: D8EC9E00 AC000009
	ds_read_b64 v[174:175], v9 offset:40576                    // 00000001DD80: D8EC9E80 AE000009
	s_waitcnt vmcnt(15)                                        // 00000001DD88: BF8C0F7F
	v_mfma_f32_16x16x32_fp8_fp8 v[176:179], a[96:97], v[112:113], 0// 00000001DD8C: D3F300B0 0A02E160
	v_mfma_f32_16x16x32_fp8_fp8 v[176:179], a[98:99], v[114:115], v[176:179]// 00000001DD94: D3F300B0 0EC2E562
	buffer_load_dwordx4 a[80:83], v30, s[20:23], 0 offen offset:1024// 00000001DD9C: E05C1400 8085501E
	v_mfma_f32_16x16x32_fp8_fp8 v[176:179], a[100:101], v[116:117], v[176:179]// 00000001DDA4: D3F300B0 0EC2E964
	v_mfma_f32_16x16x32_fp8_fp8 v[176:179], a[102:103], v[118:119], v[176:179]// 00000001DDAC: D3F300B0 0EC2ED66
	v_mfma_f32_16x16x32_fp8_fp8 v[176:179], a[104:105], v[120:121], v[176:179]// 00000001DDB4: D3F300B0 0EC2F168
	v_mfma_f32_16x16x32_fp8_fp8 v[176:179], a[106:107], v[122:123], v[176:179]// 00000001DDBC: D3F300B0 0EC2F56A
	buffer_load_dwordx4 a[84:87], v31, s[20:23], 0 offen offset:1024// 00000001DDC4: E05C1400 8085541F
	v_mfma_f32_16x16x32_fp8_fp8 v[176:179], a[108:109], v[124:125], v[176:179]// 00000001DDCC: D3F300B0 0EC2F96C
	v_mfma_f32_16x16x32_fp8_fp8 v[176:179], a[110:111], v[126:127], v[176:179]// 00000001DDD4: D3F300B0 0EC2FD6E
	v_mfma_f32_16x16x32_fp8_fp8 v[180:183], a[112:113], v[112:113], 0// 00000001DDDC: D3F300B4 0A02E170
	v_mfma_f32_16x16x32_fp8_fp8 v[180:183], a[114:115], v[114:115], v[180:183]// 00000001DDE4: D3F300B4 0ED2E572
	buffer_load_dwordx4 a[88:91], v32, s[20:23], 0 offen offset:1024// 00000001DDEC: E05C1400 80855820
	v_mfma_f32_16x16x32_fp8_fp8 v[180:183], a[116:117], v[116:117], v[180:183]// 00000001DDF4: D3F300B4 0ED2E974
	v_mfma_f32_16x16x32_fp8_fp8 v[180:183], a[118:119], v[118:119], v[180:183]// 00000001DDFC: D3F300B4 0ED2ED76
	v_mfma_f32_16x16x32_fp8_fp8 v[180:183], a[120:121], v[120:121], v[180:183]// 00000001DE04: D3F300B4 0ED2F178
	v_mfma_f32_16x16x32_fp8_fp8 v[180:183], a[122:123], v[122:123], v[180:183]// 00000001DE0C: D3F300B4 0ED2F57A
	buffer_load_dwordx4 a[92:95], v33, s[20:23], 0 offen offset:1024// 00000001DE14: E05C1400 80855C21
	v_mfma_f32_16x16x32_fp8_fp8 v[180:183], a[124:125], v[124:125], v[180:183]// 00000001DE1C: D3F300B4 0ED2F97C
	s_lshr_b32 s57, s70, 4                                     // 00000001DE24: 8F398446
	s_add_u32 s57, 48, s57                                     // 00000001DE28: 803939B0
	v_mfma_f32_16x16x32_fp8_fp8 v[180:183], a[126:127], v[126:127], v[180:183]// 00000001DE2C: D3F300B4 0ED2FD7E
	s_cmp_ge_u32 s57, s73                                      // 00000001DE34: BF094939
	s_cselect_b32 s56, 0, s56                                  // 00000001DE38: 85383880
	v_mfma_f32_16x16x32_fp8_fp8 v[184:187], a[96:97], v[128:129], 0// 00000001DE3C: D3F300B8 0A030160
	v_mfma_f32_16x16x32_fp8_fp8 v[184:187], a[98:99], v[130:131], v[184:187]// 00000001DE44: D3F300B8 0EE30562
	v_mfma_f32_16x16x32_fp8_fp8 v[184:187], a[100:101], v[132:133], v[184:187]// 00000001DE4C: D3F300B8 0EE30964
	v_mfma_f32_16x16x32_fp8_fp8 v[184:187], a[102:103], v[134:135], v[184:187]// 00000001DE54: D3F300B8 0EE30D66
	v_mfma_f32_16x16x32_fp8_fp8 v[184:187], a[104:105], v[136:137], v[184:187]// 00000001DE5C: D3F300B8 0EE31168
	v_mfma_f32_16x16x32_fp8_fp8 v[184:187], a[106:107], v[138:139], v[184:187]// 00000001DE64: D3F300B8 0EE3156A
	v_mfma_f32_16x16x32_fp8_fp8 v[184:187], a[108:109], v[140:141], v[184:187]// 00000001DE6C: D3F300B8 0EE3196C
	v_mfma_f32_16x16x32_fp8_fp8 v[184:187], a[110:111], v[142:143], v[184:187]// 00000001DE74: D3F300B8 0EE31D6E
	v_mfma_f32_16x16x32_fp8_fp8 v[188:191], a[112:113], v[128:129], 0// 00000001DE7C: D3F300BC 0A030170
	v_mfma_f32_16x16x32_fp8_fp8 v[188:191], a[114:115], v[130:131], v[188:191]// 00000001DE84: D3F300BC 0EF30572
	v_mfma_f32_16x16x32_fp8_fp8 v[188:191], a[116:117], v[132:133], v[188:191]// 00000001DE8C: D3F300BC 0EF30974
	v_mfma_f32_16x16x32_fp8_fp8 v[188:191], a[118:119], v[134:135], v[188:191]// 00000001DE94: D3F300BC 0EF30D76
	v_mfma_f32_16x16x32_fp8_fp8 v[188:191], a[120:121], v[136:137], v[188:191]// 00000001DE9C: D3F300BC 0EF31178
	v_mfma_f32_16x16x32_fp8_fp8 v[188:191], a[122:123], v[138:139], v[188:191]// 00000001DEA4: D3F300BC 0EF3157A
	v_mfma_f32_16x16x32_fp8_fp8 v[188:191], a[124:125], v[140:141], v[188:191]// 00000001DEAC: D3F300BC 0EF3197C
	v_mfma_f32_16x16x32_fp8_fp8 v[188:191], a[126:127], v[142:143], v[188:191]// 00000001DEB4: D3F300BC 0EF31D7E
	v_mfma_f32_16x16x32_fp8_fp8 v[192:195], a[96:97], v[144:145], 0// 00000001DEBC: D3F300C0 0A032160
	v_mfma_f32_16x16x32_fp8_fp8 v[192:195], a[98:99], v[146:147], v[192:195]// 00000001DEC4: D3F300C0 0F032562
	v_mfma_f32_16x16x32_fp8_fp8 v[192:195], a[100:101], v[148:149], v[192:195]// 00000001DECC: D3F300C0 0F032964
	v_mfma_f32_16x16x32_fp8_fp8 v[192:195], a[102:103], v[150:151], v[192:195]// 00000001DED4: D3F300C0 0F032D66
	v_mfma_f32_16x16x32_fp8_fp8 v[192:195], a[104:105], v[152:153], v[192:195]// 00000001DEDC: D3F300C0 0F033168
	v_mfma_f32_16x16x32_fp8_fp8 v[192:195], a[106:107], v[154:155], v[192:195]// 00000001DEE4: D3F300C0 0F03356A
	v_mfma_f32_16x16x32_fp8_fp8 v[192:195], a[108:109], v[156:157], v[192:195]// 00000001DEEC: D3F300C0 0F03396C
	v_mfma_f32_16x16x32_fp8_fp8 v[192:195], a[110:111], v[158:159], v[192:195]// 00000001DEF4: D3F300C0 0F033D6E
	v_mfma_f32_16x16x32_fp8_fp8 v[196:199], a[112:113], v[144:145], 0// 00000001DEFC: D3F300C4 0A032170
	v_mfma_f32_16x16x32_fp8_fp8 v[196:199], a[114:115], v[146:147], v[196:199]// 00000001DF04: D3F300C4 0F132572
	v_mfma_f32_16x16x32_fp8_fp8 v[196:199], a[116:117], v[148:149], v[196:199]// 00000001DF0C: D3F300C4 0F132974
	v_mfma_f32_16x16x32_fp8_fp8 v[196:199], a[118:119], v[150:151], v[196:199]// 00000001DF14: D3F300C4 0F132D76
	v_mfma_f32_16x16x32_fp8_fp8 v[196:199], a[120:121], v[152:153], v[196:199]// 00000001DF1C: D3F300C4 0F133178
	v_mfma_f32_16x16x32_fp8_fp8 v[196:199], a[122:123], v[154:155], v[196:199]// 00000001DF24: D3F300C4 0F13357A
	v_mfma_f32_16x16x32_fp8_fp8 v[196:199], a[124:125], v[156:157], v[196:199]// 00000001DF2C: D3F300C4 0F13397C
	v_mfma_f32_16x16x32_fp8_fp8 v[196:199], a[126:127], v[158:159], v[196:199]// 00000001DF34: D3F300C4 0F133D7E
	v_mfma_f32_16x16x32_fp8_fp8 v[200:203], a[96:97], v[160:161], 0// 00000001DF3C: D3F300C8 0A034160
	v_mfma_f32_16x16x32_fp8_fp8 v[200:203], a[98:99], v[162:163], v[200:203]// 00000001DF44: D3F300C8 0F234562
	v_mfma_f32_16x16x32_fp8_fp8 v[200:203], a[100:101], v[164:165], v[200:203]// 00000001DF4C: D3F300C8 0F234964
	v_mfma_f32_16x16x32_fp8_fp8 v[200:203], a[102:103], v[166:167], v[200:203]// 00000001DF54: D3F300C8 0F234D66
	v_mfma_f32_16x16x32_fp8_fp8 v[200:203], a[104:105], v[168:169], v[200:203]// 00000001DF5C: D3F300C8 0F235168
	v_mfma_f32_16x16x32_fp8_fp8 v[200:203], a[106:107], v[170:171], v[200:203]// 00000001DF64: D3F300C8 0F23556A
	v_mfma_f32_16x16x32_fp8_fp8 v[200:203], a[108:109], v[172:173], v[200:203]// 00000001DF6C: D3F300C8 0F23596C
	v_mfma_f32_16x16x32_fp8_fp8 v[200:203], a[110:111], v[174:175], v[200:203]// 00000001DF74: D3F300C8 0F235D6E
	v_mfma_f32_16x16x32_fp8_fp8 v[204:207], a[112:113], v[160:161], 0// 00000001DF7C: D3F300CC 0A034170
	v_mfma_f32_16x16x32_fp8_fp8 v[204:207], a[114:115], v[162:163], v[204:207]// 00000001DF84: D3F300CC 0F334572
	v_mfma_f32_16x16x32_fp8_fp8 v[204:207], a[116:117], v[164:165], v[204:207]// 00000001DF8C: D3F300CC 0F334974
	v_mfma_f32_16x16x32_fp8_fp8 v[204:207], a[118:119], v[166:167], v[204:207]// 00000001DF94: D3F300CC 0F334D76
	v_mfma_f32_16x16x32_fp8_fp8 v[204:207], a[120:121], v[168:169], v[204:207]// 00000001DF9C: D3F300CC 0F335178
	v_mfma_f32_16x16x32_fp8_fp8 v[204:207], a[122:123], v[170:171], v[204:207]// 00000001DFA4: D3F300CC 0F33557A
	v_mfma_f32_16x16x32_fp8_fp8 v[204:207], a[124:125], v[172:173], v[204:207]// 00000001DFAC: D3F300CC 0F33597C
	v_mfma_f32_16x16x32_fp8_fp8 v[204:207], a[126:127], v[174:175], v[204:207]// 00000001DFB4: D3F300CC 0F335D7E
	v_add_u32_e32 v1, s56, v1                                  // 00000001DFBC: 68020238
	s_addk_i32 s70, 0x100                                      // 00000001DFC0: B7460100
	s_cmp_lt_i32 s70, s71                                      // 00000001DFC4: BF044746
	s_cbranch_scc0 label_6F74                                  // 00000001DFC8: BF840001
	s_branch label_5F17                                        // 00000001DFCC: BF82EFA3

000000000001dfd0 <label_6F74>:
	s_nop 0                                                    // 00000001DFD0: BF800000
	s_nop 0                                                    // 00000001DFD4: BF800000
	s_branch label_7FD4                                        // 00000001DFD8: BF82105D

000000000001dfdc <label_6F77>:
	s_waitcnt vmcnt(8) lgkmcnt(0)                              // 00000001DFDC: BF8C0078
	v_mul_u32_u24_dpp v64, v17, v54 row_newbcast:0 row_mask:0xf bank_mask:0xf// 00000001DFE0: 10806CFA FF015011
	v_mul_u32_u24_dpp v65, v17, v54 row_newbcast:4 row_mask:0xf bank_mask:0xf// 00000001DFE8: 10826CFA FF015411
	v_mul_u32_u24_dpp v66, v17, v54 row_newbcast:8 row_mask:0xf bank_mask:0xf// 00000001DFF0: 10846CFA FF015811
	v_mul_u32_u24_dpp v67, v17, v54 row_newbcast:12 row_mask:0xf bank_mask:0xf// 00000001DFF8: 10866CFA FF015C11
	v_add_u32_e32 v26, v64, v5                                 // 00000001E000: 68340B40
	v_add_u32_e32 v27, v65, v5                                 // 00000001E004: 68360B41
	v_add_u32_e32 v28, v66, v5                                 // 00000001E008: 68380B42
	v_add_u32_e32 v29, v67, v5                                 // 00000001E00C: 683A0B43
	v_mul_u32_u24_dpp v64, v17, v63 quad_perm:[0,0,0,0] row_mask:0xf bank_mask:0xf// 00000001E010: 10807EFA FF000011
	v_add_u32_e32 v3, v64, v59                                 // 00000001E018: 68067740
	v_mul_u32_u24_dpp v64, v17, v63 quad_perm:[0,0,0,0] row_mask:0xf bank_mask:0xf// 00000001E01C: 10807EFA FF000011
	v_add_u32_e32 v56, v64, v60                                // 00000001E024: 68707940
	v_mfma_f32_16x16x32_fp8_fp8 v[112:115], a[0:1], v[80:81], 0// 00000001E028: D3F30070 0A02A100
	buffer_load_dwordx4 a[32:35], v26, s[16:19], 0 offen       // 00000001E030: E05C1000 8084201A
	v_mfma_f32_16x16x32_fp8_fp8 v[112:115], a[2:3], v[82:83], v[112:115]// 00000001E038: D3F30070 0DC2A502
	v_mfma_f32_16x16x32_fp8_fp8 v[112:115], a[4:5], v[84:85], v[112:115]// 00000001E040: D3F30070 0DC2A904
	buffer_load_dword v16, v1, s[24:27], 0 offen               // 00000001E048: E0501000 80061001
	v_mfma_f32_16x16x32_fp8_fp8 v[112:115], a[6:7], v[86:87], v[112:115]// 00000001E050: D3F30070 0DC2AD06
	v_mfma_f32_16x16x32_fp8_fp8 v[116:119], a[8:9], v[80:81], 0// 00000001E058: D3F30074 0A02A108
	buffer_load_dwordx4 a[36:39], v26, s[16:19], 0 offen offset:1024// 00000001E060: E05C1400 8084241A
	v_mfma_f32_16x16x32_fp8_fp8 v[116:119], a[10:11], v[82:83], v[116:119]// 00000001E068: D3F30074 0DD2A50A
	v_mfma_f32_16x16x32_fp8_fp8 v[116:119], a[12:13], v[84:85], v[116:119]// 00000001E070: D3F30074 0DD2A90C
	v_mfma_f32_16x16x32_fp8_fp8 v[116:119], a[14:15], v[86:87], v[116:119]// 00000001E078: D3F30074 0DD2AD0E
	v_mfma_f32_16x16x32_fp8_fp8 v[120:123], a[16:17], v[80:81], 0// 00000001E080: D3F30078 0A02A110
	buffer_load_dwordx4 a[40:43], v27, s[16:19], 0 offen       // 00000001E088: E05C1000 8084281B
	v_mfma_f32_16x16x32_fp8_fp8 v[120:123], a[18:19], v[82:83], v[120:123]// 00000001E090: D3F30078 0DE2A512
	v_mfma_f32_16x16x32_fp8_fp8 v[120:123], a[20:21], v[84:85], v[120:123]// 00000001E098: D3F30078 0DE2A914
	v_mfma_f32_16x16x32_fp8_fp8 v[120:123], a[22:23], v[86:87], v[120:123]// 00000001E0A0: D3F30078 0DE2AD16
	v_mfma_f32_16x16x32_fp8_fp8 v[124:127], a[24:25], v[80:81], 0// 00000001E0A8: D3F3007C 0A02A118
	buffer_load_dwordx4 a[44:47], v27, s[16:19], 0 offen offset:1024// 00000001E0B0: E05C1400 80842C1B
	v_mfma_f32_16x16x32_fp8_fp8 v[124:127], a[26:27], v[82:83], v[124:127]// 00000001E0B8: D3F3007C 0DF2A51A
	v_mfma_f32_16x16x32_fp8_fp8 v[124:127], a[28:29], v[84:85], v[124:127]// 00000001E0C0: D3F3007C 0DF2A91C
	v_mfma_f32_16x16x32_fp8_fp8 v[124:127], a[30:31], v[86:87], v[124:127]// 00000001E0C8: D3F3007C 0DF2AD1E
	v_mfma_f32_16x16x32_fp8_fp8 v[128:131], a[0:1], v[88:89], 0// 00000001E0D0: D3F30080 0A02B100
	v_mfma_f32_16x16x32_fp8_fp8 v[128:131], a[2:3], v[90:91], v[128:131]// 00000001E0D8: D3F30080 0E02B502
	v_mfma_f32_16x16x32_fp8_fp8 v[128:131], a[4:5], v[92:93], v[128:131]// 00000001E0E0: D3F30080 0E02B904
	v_mfma_f32_16x16x32_fp8_fp8 v[128:131], a[6:7], v[94:95], v[128:131]// 00000001E0E8: D3F30080 0E02BD06
	v_mfma_f32_16x16x32_fp8_fp8 v[132:135], a[8:9], v[88:89], 0// 00000001E0F0: D3F30084 0A02B108
	v_mfma_f32_16x16x32_fp8_fp8 v[132:135], a[10:11], v[90:91], v[132:135]// 00000001E0F8: D3F30084 0E12B50A
	v_mfma_f32_16x16x32_fp8_fp8 v[132:135], a[12:13], v[92:93], v[132:135]// 00000001E100: D3F30084 0E12B90C
	v_mfma_f32_16x16x32_fp8_fp8 v[132:135], a[14:15], v[94:95], v[132:135]// 00000001E108: D3F30084 0E12BD0E
	v_mfma_f32_16x16x32_fp8_fp8 v[136:139], a[16:17], v[88:89], 0// 00000001E110: D3F30088 0A02B110
	v_mfma_f32_16x16x32_fp8_fp8 v[136:139], a[18:19], v[90:91], v[136:139]// 00000001E118: D3F30088 0E22B512
	v_mfma_f32_16x16x32_fp8_fp8 v[136:139], a[20:21], v[92:93], v[136:139]// 00000001E120: D3F30088 0E22B914
	v_mfma_f32_16x16x32_fp8_fp8 v[136:139], a[22:23], v[94:95], v[136:139]// 00000001E128: D3F30088 0E22BD16
	v_mfma_f32_16x16x32_fp8_fp8 v[140:143], a[24:25], v[88:89], 0// 00000001E130: D3F3008C 0A02B118
	v_mfma_f32_16x16x32_fp8_fp8 v[140:143], a[26:27], v[90:91], v[140:143]// 00000001E138: D3F3008C 0E32B51A
	v_mfma_f32_16x16x32_fp8_fp8 v[140:143], a[28:29], v[92:93], v[140:143]// 00000001E140: D3F3008C 0E32B91C
	v_mfma_f32_16x16x32_fp8_fp8 v[140:143], a[30:31], v[94:95], v[140:143]// 00000001E148: D3F3008C 0E32BD1E
	v_mfma_f32_16x16x32_fp8_fp8 v[144:147], a[0:1], v[96:97], 0// 00000001E150: D3F30090 0A02C100
	v_mfma_f32_16x16x32_fp8_fp8 v[144:147], a[2:3], v[98:99], v[144:147]// 00000001E158: D3F30090 0E42C502
	v_mfma_f32_16x16x32_fp8_fp8 v[144:147], a[4:5], v[100:101], v[144:147]// 00000001E160: D3F30090 0E42C904
	v_mfma_f32_16x16x32_fp8_fp8 v[144:147], a[6:7], v[102:103], v[144:147]// 00000001E168: D3F30090 0E42CD06
	v_mfma_f32_16x16x32_fp8_fp8 v[148:151], a[8:9], v[96:97], 0// 00000001E170: D3F30094 0A02C108
	v_mfma_f32_16x16x32_fp8_fp8 v[148:151], a[10:11], v[98:99], v[148:151]// 00000001E178: D3F30094 0E52C50A
	v_mfma_f32_16x16x32_fp8_fp8 v[148:151], a[12:13], v[100:101], v[148:151]// 00000001E180: D3F30094 0E52C90C
	v_mfma_f32_16x16x32_fp8_fp8 v[148:151], a[14:15], v[102:103], v[148:151]// 00000001E188: D3F30094 0E52CD0E
	v_mfma_f32_16x16x32_fp8_fp8 v[152:155], a[16:17], v[96:97], 0// 00000001E190: D3F30098 0A02C110
	v_mfma_f32_16x16x32_fp8_fp8 v[152:155], a[18:19], v[98:99], v[152:155]// 00000001E198: D3F30098 0E62C512
	v_mfma_f32_16x16x32_fp8_fp8 v[152:155], a[20:21], v[100:101], v[152:155]// 00000001E1A0: D3F30098 0E62C914
	v_mfma_f32_16x16x32_fp8_fp8 v[152:155], a[22:23], v[102:103], v[152:155]// 00000001E1A8: D3F30098 0E62CD16
	v_mfma_f32_16x16x32_fp8_fp8 v[156:159], a[24:25], v[96:97], 0// 00000001E1B0: D3F3009C 0A02C118
	v_mfma_f32_16x16x32_fp8_fp8 v[156:159], a[26:27], v[98:99], v[156:159]// 00000001E1B8: D3F3009C 0E72C51A
	v_mfma_f32_16x16x32_fp8_fp8 v[156:159], a[28:29], v[100:101], v[156:159]// 00000001E1C0: D3F3009C 0E72C91C
	v_mfma_f32_16x16x32_fp8_fp8 v[156:159], a[30:31], v[102:103], v[156:159]// 00000001E1C8: D3F3009C 0E72CD1E
	v_mfma_f32_16x16x32_fp8_fp8 v[160:163], a[0:1], v[104:105], 0// 00000001E1D0: D3F300A0 0A02D100
	v_mfma_f32_16x16x32_fp8_fp8 v[160:163], a[2:3], v[106:107], v[160:163]// 00000001E1D8: D3F300A0 0E82D502
	v_mfma_f32_16x16x32_fp8_fp8 v[160:163], a[4:5], v[108:109], v[160:163]// 00000001E1E0: D3F300A0 0E82D904
	v_mfma_f32_16x16x32_fp8_fp8 v[160:163], a[6:7], v[110:111], v[160:163]// 00000001E1E8: D3F300A0 0E82DD06
	v_mfma_f32_16x16x32_fp8_fp8 v[164:167], a[8:9], v[104:105], 0// 00000001E1F0: D3F300A4 0A02D108
	v_mfma_f32_16x16x32_fp8_fp8 v[164:167], a[10:11], v[106:107], v[164:167]// 00000001E1F8: D3F300A4 0E92D50A
	v_mfma_f32_16x16x32_fp8_fp8 v[164:167], a[12:13], v[108:109], v[164:167]// 00000001E200: D3F300A4 0E92D90C
	v_mfma_f32_16x16x32_fp8_fp8 v[164:167], a[14:15], v[110:111], v[164:167]// 00000001E208: D3F300A4 0E92DD0E
	v_mfma_f32_16x16x32_fp8_fp8 v[168:171], a[16:17], v[104:105], 0// 00000001E210: D3F300A8 0A02D110
	v_mfma_f32_16x16x32_fp8_fp8 v[168:171], a[18:19], v[106:107], v[168:171]// 00000001E218: D3F300A8 0EA2D512
	v_mfma_f32_16x16x32_fp8_fp8 v[168:171], a[20:21], v[108:109], v[168:171]// 00000001E220: D3F300A8 0EA2D914
	v_mfma_f32_16x16x32_fp8_fp8 v[168:171], a[22:23], v[110:111], v[168:171]// 00000001E228: D3F300A8 0EA2DD16
	v_mfma_f32_16x16x32_fp8_fp8 v[172:175], a[24:25], v[104:105], 0// 00000001E230: D3F300AC 0A02D118
	v_mfma_f32_16x16x32_fp8_fp8 v[172:175], a[26:27], v[106:107], v[172:175]// 00000001E238: D3F300AC 0EB2D51A
	v_mfma_f32_16x16x32_fp8_fp8 v[172:175], a[28:29], v[108:109], v[172:175]// 00000001E240: D3F300AC 0EB2D91C
	v_mfma_f32_16x16x32_fp8_fp8 v[172:175], a[30:31], v[110:111], v[172:175]// 00000001E248: D3F300AC 0EB2DD1E
	buffer_load_dword v43, v3, s[32:35], 0 offen               // 00000001E250: E0501000 80082B03
	v_mov_b32_dpp v64, v42 row_shr:4 row_mask:0xf bank_mask:0xf// 00000001E258: 7E8002FA FF01142A
	v_mov_b32_dpp v65, v42 row_shl:4 row_mask:0xf bank_mask:0xf// 00000001E260: 7E8202FA FF01042A
	v_cndmask_b32_e64 v248, v42, v64, s[44:45]                 // 00000001E268: D10000F8 00B2812A
	v_cndmask_b32_e64 v249, v65, v42, s[44:45]                 // 00000001E270: D10000F9 00B25541
	v_mov_b32_dpp v64, v248 row_shr:8 row_mask:0xf bank_mask:0xf// 00000001E278: 7E8002FA FF0118F8
	v_mov_b32_dpp v65, v248 row_shl:8 row_mask:0xf bank_mask:0xf// 00000001E280: 7E8202FA FF0108F8
	v_mov_b32_dpp v66, v249 row_shr:8 row_mask:0xf bank_mask:0xf// 00000001E288: 7E8402FA FF0118F9
	v_mov_b32_dpp v67, v249 row_shl:8 row_mask:0xf bank_mask:0xf// 00000001E290: 7E8602FA FF0108F9
	v_mov_b32_e32 v68, v248                                    // 00000001E298: 7E8803F8
	v_mov_b32_e32 v69, v249                                    // 00000001E29C: 7E8A03F9
	v_cndmask_b32_e64 v248, v68, v64, s[42:43]                 // 00000001E2A0: D10000F8 00AA8144
	v_cndmask_b32_e64 v250, v68, v65, s[78:79]                 // 00000001E2A8: D10000FA 013A8344
	v_cndmask_b32_e64 v249, v69, v66, s[42:43]                 // 00000001E2B0: D10000F9 00AA8545
	v_cndmask_b32_e64 v251, v69, v67, s[78:79]                 // 00000001E2B8: D10000FB 013A8745
	v_mov_b32_dpp v64, v57 row_shr:4 row_mask:0xf bank_mask:0xf// 00000001E2C0: 7E8002FA FF011439
	v_mov_b32_dpp v65, v57 row_shl:4 row_mask:0xf bank_mask:0xf// 00000001E2C8: 7E8202FA FF010439
	v_cndmask_b32_e64 v252, v57, v64, s[44:45]                 // 00000001E2D0: D10000FC 00B28139
	v_cndmask_b32_e64 v253, v65, v57, s[44:45]                 // 00000001E2D8: D10000FD 00B27341
	v_mov_b32_dpp v64, v252 row_shr:8 row_mask:0xf bank_mask:0xf// 00000001E2E0: 7E8002FA FF0118FC
	v_mov_b32_dpp v65, v252 row_shl:8 row_mask:0xf bank_mask:0xf// 00000001E2E8: 7E8202FA FF0108FC
	v_mov_b32_dpp v66, v253 row_shr:8 row_mask:0xf bank_mask:0xf// 00000001E2F0: 7E8402FA FF0118FD
	v_mov_b32_dpp v67, v253 row_shl:8 row_mask:0xf bank_mask:0xf// 00000001E2F8: 7E8602FA FF0108FD
	v_mov_b32_e32 v68, v252                                    // 00000001E300: 7E8803FC
	v_mov_b32_e32 v69, v253                                    // 00000001E304: 7E8A03FD
	v_cndmask_b32_e64 v252, v68, v64, s[42:43]                 // 00000001E308: D10000FC 00AA8144
	v_cndmask_b32_e64 v254, v68, v65, s[78:79]                 // 00000001E310: D10000FE 013A8344
	v_cndmask_b32_e64 v253, v69, v66, s[42:43]                 // 00000001E318: D10000FD 00AA8545
	v_cndmask_b32_e64 v255, v69, v67, s[78:79]                 // 00000001E320: D10000FF 013A8745
	buffer_load_dword v58, v56, s[36:39], 0 offen              // 00000001E328: E0501000 80093A38
	v_mul_f32_e32 v112, v18, v112                              // 00000001E330: 0AE0E112
	v_mul_f32_e32 v113, v18, v113                              // 00000001E334: 0AE2E312
	v_mul_f32_e32 v114, v18, v114                              // 00000001E338: 0AE4E512
	v_mul_f32_e32 v115, v18, v115                              // 00000001E33C: 0AE6E712
	v_mul_f32_e32 v116, v18, v116                              // 00000001E340: 0AE8E912
	v_mul_f32_e32 v117, v18, v117                              // 00000001E344: 0AEAEB12
	v_mul_f32_e32 v118, v18, v118                              // 00000001E348: 0AECED12
	v_mul_f32_e32 v119, v18, v119                              // 00000001E34C: 0AEEEF12
	v_mul_f32_e32 v120, v18, v120                              // 00000001E350: 0AF0F112
	v_mul_f32_e32 v121, v18, v121                              // 00000001E354: 0AF2F312
	v_mul_f32_e32 v122, v18, v122                              // 00000001E358: 0AF4F512
	v_mul_f32_e32 v123, v18, v123                              // 00000001E35C: 0AF6F712
	v_mul_f32_e32 v124, v18, v124                              // 00000001E360: 0AF8F912
	v_mul_f32_e32 v125, v18, v125                              // 00000001E364: 0AFAFB12
	v_mul_f32_e32 v126, v18, v126                              // 00000001E368: 0AFCFD12
	v_mul_f32_e32 v127, v18, v127                              // 00000001E36C: 0AFEFF12
	buffer_load_dwordx4 a[48:51], v28, s[16:19], 0 offen       // 00000001E370: E05C1000 8084301C
	v_mul_f32_dpp v112, v248, v112 quad_perm:[0,0,0,0] row_mask:0xf bank_mask:0xf// 00000001E378: 0AE0E0FA FF0000F8
	v_mul_f32_dpp v113, v248, v113 quad_perm:[1,1,1,1] row_mask:0xf bank_mask:0xf// 00000001E380: 0AE2E2FA FF0055F8
	v_mul_f32_dpp v114, v248, v114 quad_perm:[2,2,2,2] row_mask:0xf bank_mask:0xf// 00000001E388: 0AE4E4FA FF00AAF8
	v_mul_f32_dpp v115, v248, v115 quad_perm:[3,3,3,3] row_mask:0xf bank_mask:0xf// 00000001E390: 0AE6E6FA FF00FFF8
	v_mul_f32_dpp v116, v249, v116 quad_perm:[0,0,0,0] row_mask:0xf bank_mask:0xf// 00000001E398: 0AE8E8FA FF0000F9
	v_mul_f32_dpp v117, v249, v117 quad_perm:[1,1,1,1] row_mask:0xf bank_mask:0xf// 00000001E3A0: 0AEAEAFA FF0055F9
	v_mul_f32_dpp v118, v249, v118 quad_perm:[2,2,2,2] row_mask:0xf bank_mask:0xf// 00000001E3A8: 0AECECFA FF00AAF9
	v_mul_f32_dpp v119, v249, v119 quad_perm:[3,3,3,3] row_mask:0xf bank_mask:0xf// 00000001E3B0: 0AEEEEFA FF00FFF9
	v_mul_f32_dpp v120, v250, v120 quad_perm:[0,0,0,0] row_mask:0xf bank_mask:0xf// 00000001E3B8: 0AF0F0FA FF0000FA
	v_mul_f32_dpp v121, v250, v121 quad_perm:[1,1,1,1] row_mask:0xf bank_mask:0xf// 00000001E3C0: 0AF2F2FA FF0055FA
	v_mul_f32_dpp v122, v250, v122 quad_perm:[2,2,2,2] row_mask:0xf bank_mask:0xf// 00000001E3C8: 0AF4F4FA FF00AAFA
	v_mul_f32_dpp v123, v250, v123 quad_perm:[3,3,3,3] row_mask:0xf bank_mask:0xf// 00000001E3D0: 0AF6F6FA FF00FFFA
	v_mul_f32_dpp v124, v251, v124 quad_perm:[0,0,0,0] row_mask:0xf bank_mask:0xf// 00000001E3D8: 0AF8F8FA FF0000FB
	v_mul_f32_dpp v125, v251, v125 quad_perm:[1,1,1,1] row_mask:0xf bank_mask:0xf// 00000001E3E0: 0AFAFAFA FF0055FB
	v_mul_f32_dpp v126, v251, v126 quad_perm:[2,2,2,2] row_mask:0xf bank_mask:0xf// 00000001E3E8: 0AFCFCFA FF00AAFB
	v_mul_f32_dpp v127, v251, v127 quad_perm:[3,3,3,3] row_mask:0xf bank_mask:0xf// 00000001E3F0: 0AFEFEFA FF00FFFB
	buffer_load_dwordx4 a[52:55], v28, s[16:19], 0 offen offset:1024// 00000001E3F8: E05C1400 8084341C
	v_mov_b32_e32 v48, v112                                    // 00000001E400: 7E600370
	v_max3_f32 v48, v112, v113, v48                            // 00000001E404: D1D30030 04C2E370
	v_max3_f32 v48, v114, v115, v48                            // 00000001E40C: D1D30030 04C2E772
	v_max3_f32 v48, v116, v117, v48                            // 00000001E414: D1D30030 04C2EB74
	v_max3_f32 v48, v118, v119, v48                            // 00000001E41C: D1D30030 04C2EF76
	v_max3_f32 v48, v120, v121, v48                            // 00000001E424: D1D30030 04C2F378
	v_max3_f32 v48, v122, v123, v48                            // 00000001E42C: D1D30030 04C2F77A
	v_max3_f32 v48, v124, v125, v48                            // 00000001E434: D1D30030 04C2FB7C
	v_max3_f32 v48, v126, v127, v48                            // 00000001E43C: D1D30030 04C2FF7E
	ds_write_b32 v8, v48 offset:16896                          // 00000001E444: D81A4200 00003008
	buffer_load_dwordx4 a[56:59], v29, s[16:19], 0 offen       // 00000001E44C: E05C1000 8084381D
	v_mul_u32_u24_dpp v64, v17, v54 row_newbcast:1 row_mask:0xf bank_mask:0xf// 00000001E454: 10806CFA FF015111
	v_mul_u32_u24_dpp v65, v17, v54 row_newbcast:5 row_mask:0xf bank_mask:0xf// 00000001E45C: 10826CFA FF015511
	v_mul_u32_u24_dpp v66, v17, v54 row_newbcast:9 row_mask:0xf bank_mask:0xf// 00000001E464: 10846CFA FF015911
	v_mul_u32_u24_dpp v67, v17, v54 row_newbcast:13 row_mask:0xf bank_mask:0xf// 00000001E46C: 10866CFA FF015D11
	v_add_u32_e32 v34, v64, v6                                 // 00000001E474: 68440D40
	v_add_u32_e32 v35, v65, v6                                 // 00000001E478: 68460D41
	v_add_u32_e32 v36, v66, v6                                 // 00000001E47C: 68480D42
	v_add_u32_e32 v37, v67, v6                                 // 00000001E480: 684A0D43
	v_mul_f32_e32 v208, v49, v208                              // 00000001E484: 0BA1A131
	v_mul_f32_e32 v209, v49, v209                              // 00000001E488: 0BA3A331
	v_mul_f32_e32 v210, v49, v210                              // 00000001E48C: 0BA5A531
	v_mul_f32_e32 v211, v49, v211                              // 00000001E490: 0BA7A731
	v_mul_f32_e32 v212, v49, v212                              // 00000001E494: 0BA9A931
	v_mul_f32_e32 v213, v49, v213                              // 00000001E498: 0BABAB31
	v_mul_f32_e32 v214, v49, v214                              // 00000001E49C: 0BADAD31
	v_mul_f32_e32 v215, v49, v215                              // 00000001E4A0: 0BAFAF31
	s_waitcnt lgkmcnt(0)                                       // 00000001E4A4: BF8CC07F
	s_barrier                                                  // 00000001E4A8: BF8A0000
	ds_read_b32 v64, v7 offset:16896                           // 00000001E4AC: D86C4200 40000007
	ds_read_b32 v65, v7 offset:16960                           // 00000001E4B4: D86C4240 41000007
	ds_read_b32 v66, v7 offset:17024                           // 00000001E4BC: D86C4280 42000007
	ds_read_b32 v67, v7 offset:17088                           // 00000001E4C4: D86C42C0 43000007
	ds_read_b32 v68, v7 offset:17152                           // 00000001E4CC: D86C4300 44000007
	ds_read_b32 v69, v7 offset:17216                           // 00000001E4D4: D86C4340 45000007
	ds_read_b32 v70, v7 offset:17280                           // 00000001E4DC: D86C4380 46000007
	ds_read_b32 v71, v7 offset:17344                           // 00000001E4E4: D86C43C0 47000007
	ds_read_b32 v72, v7 offset:17408                           // 00000001E4EC: D86C4400 48000007
	ds_read_b32 v73, v7 offset:17472                           // 00000001E4F4: D86C4440 49000007
	ds_read_b32 v74, v7 offset:17536                           // 00000001E4FC: D86C4480 4A000007
	ds_read_b32 v75, v7 offset:17600                           // 00000001E504: D86C44C0 4B000007
	ds_read_b32 v76, v7 offset:17664                           // 00000001E50C: D86C4500 4C000007
	ds_read_b32 v77, v7 offset:17728                           // 00000001E514: D86C4540 4D000007
	ds_read_b32 v78, v7 offset:17792                           // 00000001E51C: D86C4580 4E000007
	ds_read_b32 v79, v7 offset:17856                           // 00000001E524: D86C45C0 4F000007
	buffer_load_dwordx4 a[60:63], v29, s[16:19], 0 offen offset:1024// 00000001E52C: E05C1400 80843C1D
	v_mul_f32_e32 v176, v44, v176                              // 00000001E534: 0B61612C
	v_mul_f32_e32 v177, v44, v177                              // 00000001E538: 0B63632C
	v_mul_f32_e32 v178, v44, v178                              // 00000001E53C: 0B65652C
	v_mul_f32_e32 v179, v44, v179                              // 00000001E540: 0B67672C
	v_mul_f32_e32 v180, v44, v180                              // 00000001E544: 0B69692C
	v_mul_f32_e32 v181, v44, v181                              // 00000001E548: 0B6B6B2C
	v_mul_f32_e32 v182, v44, v182                              // 00000001E54C: 0B6D6D2C
	v_mul_f32_e32 v183, v44, v183                              // 00000001E550: 0B6F6F2C
	s_waitcnt lgkmcnt(0)                                       // 00000001E554: BF8CC07F
	v_max3_f32 v48, v64, v65, v48                              // 00000001E558: D1D30030 04C28340
	v_max3_f32 v48, v66, v67, v48                              // 00000001E560: D1D30030 04C28742
	v_max3_f32 v48, v68, v69, v48                              // 00000001E568: D1D30030 04C28B44
	v_max3_f32 v48, v70, v71, v48                              // 00000001E570: D1D30030 04C28F46
	v_max3_f32 v48, v72, v73, v48                              // 00000001E578: D1D30030 04C29348
	v_max3_f32 v48, v74, v75, v48                              // 00000001E580: D1D30030 04C2974A
	v_max3_f32 v48, v76, v77, v48                              // 00000001E588: D1D30030 04C29B4C
	v_max3_f32 v48, v78, v79, v48                              // 00000001E590: D1D30030 04C29F4E
	buffer_load_dwordx4 a[96:99], v34, s[20:23], 0 offen       // 00000001E598: E05C1000 80856022
	v_mov_b32_e32 v64, 0xff800000                              // 00000001E5A0: 7E8002FF FF800000
	v_cmp_eq_u32_e64 s[40:41], v64, v11                        // 00000001E5A8: D0CA0028 00021740
	s_nop 1                                                    // 00000001E5B0: BF800001
	v_max_f32_e32 v15, v48, v11                                // 00000001E5B4: 161E1730
	v_mul_f32_e32 v53, s64, v15                                // 00000001E5B8: 0A6A1E40
	v_fma_f32 v112, v112, s64, -v53                            // 00000001E5BC: D1CB0070 84D48170
	v_fma_f32 v113, v113, s64, -v53                            // 00000001E5C4: D1CB0071 84D48171
	v_fma_f32 v114, v114, s64, -v53                            // 00000001E5CC: D1CB0072 84D48172
	v_fma_f32 v115, v115, s64, -v53                            // 00000001E5D4: D1CB0073 84D48173
	v_fma_f32 v116, v116, s64, -v53                            // 00000001E5DC: D1CB0074 84D48174
	v_fma_f32 v117, v117, s64, -v53                            // 00000001E5E4: D1CB0075 84D48175
	v_fma_f32 v118, v118, s64, -v53                            // 00000001E5EC: D1CB0076 84D48176
	v_fma_f32 v119, v119, s64, -v53                            // 00000001E5F4: D1CB0077 84D48177
	v_fma_f32 v120, v120, s64, -v53                            // 00000001E5FC: D1CB0078 84D48178
	v_fma_f32 v121, v121, s64, -v53                            // 00000001E604: D1CB0079 84D48179
	v_fma_f32 v122, v122, s64, -v53                            // 00000001E60C: D1CB007A 84D4817A
	v_fma_f32 v123, v123, s64, -v53                            // 00000001E614: D1CB007B 84D4817B
	v_fma_f32 v124, v124, s64, -v53                            // 00000001E61C: D1CB007C 84D4817C
	v_fma_f32 v125, v125, s64, -v53                            // 00000001E624: D1CB007D 84D4817D
	v_fma_f32 v126, v126, s64, -v53                            // 00000001E62C: D1CB007E 84D4817E
	v_fma_f32 v127, v127, s64, -v53                            // 00000001E634: D1CB007F 84D4817F
	buffer_load_dwordx4 a[100:103], v35, s[20:23], 0 offen     // 00000001E63C: E05C1000 80856423
	v_exp_f32_e32 v112, v112                                   // 00000001E644: 7EE04170
	v_exp_f32_e32 v113, v113                                   // 00000001E648: 7EE24171
	v_exp_f32_e32 v114, v114                                   // 00000001E64C: 7EE44172
	v_exp_f32_e32 v115, v115                                   // 00000001E650: 7EE64173
	v_exp_f32_e32 v116, v116                                   // 00000001E654: 7EE84174
	v_exp_f32_e32 v117, v117                                   // 00000001E658: 7EEA4175
	v_exp_f32_e32 v118, v118                                   // 00000001E65C: 7EEC4176
	v_exp_f32_e32 v119, v119                                   // 00000001E660: 7EEE4177
	v_exp_f32_e32 v120, v120                                   // 00000001E664: 7EF04178
	v_exp_f32_e32 v121, v121                                   // 00000001E668: 7EF24179
	v_exp_f32_e32 v122, v122                                   // 00000001E66C: 7EF4417A
	v_exp_f32_e32 v123, v123                                   // 00000001E670: 7EF6417B
	v_exp_f32_e32 v124, v124                                   // 00000001E674: 7EF8417C
	v_exp_f32_e32 v125, v125                                   // 00000001E678: 7EFA417D
	v_exp_f32_e32 v126, v126                                   // 00000001E67C: 7EFC417E
	v_exp_f32_e32 v127, v127                                   // 00000001E680: 7EFE417F
	buffer_load_dwordx4 a[104:107], v36, s[20:23], 0 offen     // 00000001E684: E05C1000 80856824
	v_mul_f32_dpp v240, v252, v112 quad_perm:[0,0,0,0] row_mask:0xf bank_mask:0xf// 00000001E68C: 0BE0E0FA FF0000FC
	v_mul_f32_dpp v241, v252, v113 quad_perm:[1,1,1,1] row_mask:0xf bank_mask:0xf// 00000001E694: 0BE2E2FA FF0055FC
	v_mul_f32_dpp v242, v252, v114 quad_perm:[2,2,2,2] row_mask:0xf bank_mask:0xf// 00000001E69C: 0BE4E4FA FF00AAFC
	v_mul_f32_dpp v243, v252, v115 quad_perm:[3,3,3,3] row_mask:0xf bank_mask:0xf// 00000001E6A4: 0BE6E6FA FF00FFFC
	v_mul_f32_dpp v244, v253, v116 quad_perm:[0,0,0,0] row_mask:0xf bank_mask:0xf// 00000001E6AC: 0BE8E8FA FF0000FD
	v_mul_f32_dpp v245, v253, v117 quad_perm:[1,1,1,1] row_mask:0xf bank_mask:0xf// 00000001E6B4: 0BEAEAFA FF0055FD
	v_mul_f32_dpp v246, v253, v118 quad_perm:[2,2,2,2] row_mask:0xf bank_mask:0xf// 00000001E6BC: 0BECECFA FF00AAFD
	v_mul_f32_dpp v247, v253, v119 quad_perm:[3,3,3,3] row_mask:0xf bank_mask:0xf// 00000001E6C4: 0BEEEEFA FF00FFFD
	v_mul_f32_dpp v248, v254, v120 quad_perm:[0,0,0,0] row_mask:0xf bank_mask:0xf// 00000001E6CC: 0BF0F0FA FF0000FE
	v_mul_f32_dpp v249, v254, v121 quad_perm:[1,1,1,1] row_mask:0xf bank_mask:0xf// 00000001E6D4: 0BF2F2FA FF0055FE
	v_mul_f32_dpp v250, v254, v122 quad_perm:[2,2,2,2] row_mask:0xf bank_mask:0xf// 00000001E6DC: 0BF4F4FA FF00AAFE
	v_mul_f32_dpp v251, v254, v123 quad_perm:[3,3,3,3] row_mask:0xf bank_mask:0xf// 00000001E6E4: 0BF6F6FA FF00FFFE
	v_mul_f32_dpp v252, v255, v124 quad_perm:[0,0,0,0] row_mask:0xf bank_mask:0xf// 00000001E6EC: 0BF8F8FA FF0000FF
	v_mul_f32_dpp v253, v255, v125 quad_perm:[1,1,1,1] row_mask:0xf bank_mask:0xf// 00000001E6F4: 0BFAFAFA FF0055FF
	v_mul_f32_dpp v254, v255, v126 quad_perm:[2,2,2,2] row_mask:0xf bank_mask:0xf// 00000001E6FC: 0BFCFCFA FF00AAFF
	v_mul_f32_dpp v255, v255, v127 quad_perm:[3,3,3,3] row_mask:0xf bank_mask:0xf// 00000001E704: 0BFEFEFA FF00FFFF
	v_mov_b32_e32 v48, 0x358637bd                              // 00000001E70C: 7E6002FF 358637BD
	v_max3_f32 v48, |v240|, |v241|, v48                        // 00000001E714: D1D30330 04C3E3F0
	v_max3_f32 v48, |v242|, |v243|, v48                        // 00000001E71C: D1D30330 04C3E7F2
	v_max3_f32 v48, |v244|, |v245|, v48                        // 00000001E724: D1D30330 04C3EBF4
	v_max3_f32 v48, |v246|, |v247|, v48                        // 00000001E72C: D1D30330 04C3EFF6
	v_max3_f32 v48, |v248|, |v249|, v48                        // 00000001E734: D1D30330 04C3F3F8
	v_max3_f32 v48, |v250|, |v251|, v48                        // 00000001E73C: D1D30330 04C3F7FA
	v_max3_f32 v48, |v252|, |v253|, v48                        // 00000001E744: D1D30330 04C3FBFC
	v_max3_f32 v48, |v254|, |v255|, v48                        // 00000001E74C: D1D30330 04C3FFFE
	buffer_load_dwordx4 a[108:111], v37, s[20:23], 0 offen     // 00000001E754: E05C1000 80856C25
	ds_write_b32 v8, v48 offset:20992                          // 00000001E75C: D81A5200 00003008
	v_sub_f32_e32 v49, v11, v15                                // 00000001E764: 04621F0B
	v_cndmask_b32_e64 v49, v49, 0, s[40:41]                    // 00000001E768: D1000031 00A10131
	v_mov_b32_e32 v11, v15                                     // 00000001E770: 7E16030F
	v_mul_f32_e32 v49, s64, v49                                // 00000001E774: 0A626240
	v_exp_f32_e32 v49, v49                                     // 00000001E778: 7E624131
	s_waitcnt lgkmcnt(0)                                       // 00000001E77C: BF8CC07F
	s_barrier                                                  // 00000001E780: BF8A0000
	ds_read_b32 v64, v7 offset:20992                           // 00000001E784: D86C5200 40000007
	ds_read_b32 v65, v7 offset:21056                           // 00000001E78C: D86C5240 41000007
	ds_read_b32 v66, v7 offset:21120                           // 00000001E794: D86C5280 42000007
	ds_read_b32 v67, v7 offset:21184                           // 00000001E79C: D86C52C0 43000007
	ds_read_b32 v68, v7 offset:21248                           // 00000001E7A4: D86C5300 44000007
	ds_read_b32 v69, v7 offset:21312                           // 00000001E7AC: D86C5340 45000007
	ds_read_b32 v70, v7 offset:21376                           // 00000001E7B4: D86C5380 46000007
	ds_read_b32 v71, v7 offset:21440                           // 00000001E7BC: D86C53C0 47000007
	ds_read_b32 v72, v7 offset:21504                           // 00000001E7C4: D86C5400 48000007
	ds_read_b32 v73, v7 offset:21568                           // 00000001E7CC: D86C5440 49000007
	ds_read_b32 v74, v7 offset:21632                           // 00000001E7D4: D86C5480 4A000007
	ds_read_b32 v75, v7 offset:21696                           // 00000001E7DC: D86C54C0 4B000007
	ds_read_b32 v76, v7 offset:21760                           // 00000001E7E4: D86C5500 4C000007
	ds_read_b32 v77, v7 offset:21824                           // 00000001E7EC: D86C5540 4D000007
	ds_read_b32 v78, v7 offset:21888                           // 00000001E7F4: D86C5580 4E000007
	ds_read_b32 v79, v7 offset:21952                           // 00000001E7FC: D86C55C0 4F000007
	v_mul_f32_e32 v38, v49, v38                                // 00000001E804: 0A4C4D31
	v_mov_b32_e32 v15, v112                                    // 00000001E808: 7E1E0370
	v_add_f32_e32 v15, v113, v15                               // 00000001E80C: 021E1F71
	v_add_f32_e32 v15, v114, v15                               // 00000001E810: 021E1F72
	v_add_f32_e32 v15, v115, v15                               // 00000001E814: 021E1F73
	v_add_f32_e32 v15, v116, v15                               // 00000001E818: 021E1F74
	v_add_f32_e32 v15, v117, v15                               // 00000001E81C: 021E1F75
	v_add_f32_e32 v15, v118, v15                               // 00000001E820: 021E1F76
	v_add_f32_e32 v15, v119, v15                               // 00000001E824: 021E1F77
	v_add_f32_e32 v15, v120, v15                               // 00000001E828: 021E1F78
	v_add_f32_e32 v15, v121, v15                               // 00000001E82C: 021E1F79
	v_add_f32_e32 v15, v122, v15                               // 00000001E830: 021E1F7A
	v_add_f32_e32 v15, v123, v15                               // 00000001E834: 021E1F7B
	v_add_f32_e32 v15, v124, v15                               // 00000001E838: 021E1F7C
	v_add_f32_e32 v15, v125, v15                               // 00000001E83C: 021E1F7D
	v_add_f32_e32 v15, v126, v15                               // 00000001E840: 021E1F7E
	v_add_f32_e32 v15, v127, v15                               // 00000001E844: 021E1F7F
	v_add_f32_e32 v38, v15, v38                                // 00000001E848: 024C4D0F
	s_waitcnt lgkmcnt(0)                                       // 00000001E84C: BF8CC07F
	v_max3_f32 v48, |v64|, |v65|, v48                          // 00000001E850: D1D30330 04C28340
	v_max3_f32 v48, |v66|, |v67|, v48                          // 00000001E858: D1D30330 04C28742
	v_max3_f32 v48, |v68|, |v69|, v48                          // 00000001E860: D1D30330 04C28B44
	v_max3_f32 v48, |v70|, |v71|, v48                          // 00000001E868: D1D30330 04C28F46
	v_max3_f32 v48, |v72|, |v73|, v48                          // 00000001E870: D1D30330 04C29348
	v_max3_f32 v48, |v74|, |v75|, v48                          // 00000001E878: D1D30330 04C2974A
	v_max3_f32 v48, |v76|, |v77|, v48                          // 00000001E880: D1D30330 04C29B4C
	v_max3_f32 v48, |v78|, |v79|, v48                          // 00000001E888: D1D30330 04C29F4E
	s_nop 2                                                    // 00000001E890: BF800002
	v_rcp_f32_e32 v48, v48                                     // 00000001E894: 7E604530
	s_nop 1                                                    // 00000001E898: BF800001
	v_mul_f32_e32 v48, 0x43e00000, v48                         // 00000001E89C: 0A6060FF 43E00000
	v_mul_f32_e32 v112, v48, v240                              // 00000001E8A4: 0AE1E130
	v_mul_f32_e32 v113, v48, v241                              // 00000001E8A8: 0AE3E330
	v_mul_f32_e32 v114, v48, v242                              // 00000001E8AC: 0AE5E530
	v_mul_f32_e32 v115, v48, v243                              // 00000001E8B0: 0AE7E730
	v_mul_f32_e32 v116, v48, v244                              // 00000001E8B4: 0AE9E930
	v_mul_f32_e32 v117, v48, v245                              // 00000001E8B8: 0AEBEB30
	v_mul_f32_e32 v118, v48, v246                              // 00000001E8BC: 0AEDED30
	v_mul_f32_e32 v119, v48, v247                              // 00000001E8C0: 0AEFEF30
	v_mul_f32_e32 v120, v48, v248                              // 00000001E8C4: 0AF1F130
	v_mul_f32_e32 v121, v48, v249                              // 00000001E8C8: 0AF3F330
	v_mul_f32_e32 v122, v48, v250                              // 00000001E8CC: 0AF5F530
	v_mul_f32_e32 v123, v48, v251                              // 00000001E8D0: 0AF7F730
	v_mul_f32_e32 v124, v48, v252                              // 00000001E8D4: 0AF9F930
	v_mul_f32_e32 v125, v48, v253                              // 00000001E8D8: 0AFBFB30
	v_mul_f32_e32 v126, v48, v254                              // 00000001E8DC: 0AFDFD30
	v_mul_f32_e32 v127, v48, v255                              // 00000001E8E0: 0AFFFF30
	v_cvt_pk_fp8_f32 v112, v112, v113                          // 00000001E8E4: D2A20070 0002E370
	v_cvt_pk_fp8_f32 v112, v114, v115 op_sel:[0,0,1]           // 00000001E8EC: D2A24070 0002E772
	v_cvt_pk_fp8_f32 v113, v116, v117                          // 00000001E8F4: D2A20071 0002EB74
	v_cvt_pk_fp8_f32 v113, v118, v119 op_sel:[0,0,1]           // 00000001E8FC: D2A24071 0002EF76
	v_cvt_pk_fp8_f32 v114, v120, v121                          // 00000001E904: D2A20072 0002F378
	v_cvt_pk_fp8_f32 v114, v122, v123 op_sel:[0,0,1]           // 00000001E90C: D2A24072 0002F77A
	v_cvt_pk_fp8_f32 v115, v124, v125                          // 00000001E914: D2A20073 0002FB7C
	v_cvt_pk_fp8_f32 v115, v126, v127 op_sel:[0,0,1]           // 00000001E91C: D2A24073 0002FF7E
	ds_write_b32 v10, v112 offset:25088                        // 00000001E924: D81A6200 0000700A
	ds_write_b32 v10, v113 offset:26112                        // 00000001E92C: D81A6600 0000710A
	ds_write_b32 v10, v114 offset:27136                        // 00000001E934: D81A6A00 0000720A
	ds_write_b32 v10, v115 offset:28160                        // 00000001E93C: D81A6E00 0000730A
	v_add_f32_e32 v208, v208, v176                             // 00000001E944: 03A161D0
	v_add_f32_e32 v209, v209, v177                             // 00000001E948: 03A363D1
	v_add_f32_e32 v210, v210, v178                             // 00000001E94C: 03A565D2
	v_add_f32_e32 v211, v211, v179                             // 00000001E950: 03A767D3
	v_add_f32_e32 v212, v212, v180                             // 00000001E954: 03A969D4
	v_add_f32_e32 v213, v213, v181                             // 00000001E958: 03AB6BD5
	v_add_f32_e32 v214, v214, v182                             // 00000001E95C: 03AD6DD6
	v_add_f32_e32 v215, v215, v183                             // 00000001E960: 03AF6FD7
	v_rcp_f32_e32 v44, v48                                     // 00000001E964: 7E584530
	s_waitcnt lgkmcnt(0)                                       // 00000001E968: BF8CC07F
	s_barrier                                                  // 00000001E96C: BF8A0000
	ds_read_b64 v[112:113], v9 offset:25088                    // 00000001E970: D8EC6200 70000009
	ds_read_b64 v[114:115], v9 offset:25216                    // 00000001E978: D8EC6280 72000009
	ds_read_b64 v[116:117], v9 offset:26112                    // 00000001E980: D8EC6600 74000009
	ds_read_b64 v[118:119], v9 offset:26240                    // 00000001E988: D8EC6680 76000009
	ds_read_b64 v[120:121], v9 offset:27136                    // 00000001E990: D8EC6A00 78000009
	ds_read_b64 v[122:123], v9 offset:27264                    // 00000001E998: D8EC6A80 7A000009
	ds_read_b64 v[124:125], v9 offset:28160                    // 00000001E9A0: D8EC6E00 7C000009
	ds_read_b64 v[126:127], v9 offset:28288                    // 00000001E9A8: D8EC6E80 7E000009
	v_mov_b32_dpp v64, v42 row_shr:4 row_mask:0xf bank_mask:0xf// 00000001E9B0: 7E8002FA FF01142A
	v_mov_b32_dpp v65, v42 row_shl:4 row_mask:0xf bank_mask:0xf// 00000001E9B8: 7E8202FA FF01042A
	v_cndmask_b32_e64 v248, v42, v64, s[44:45]                 // 00000001E9C0: D10000F8 00B2812A
	v_cndmask_b32_e64 v249, v65, v42, s[44:45]                 // 00000001E9C8: D10000F9 00B25541
	v_mov_b32_dpp v64, v248 row_shr:8 row_mask:0xf bank_mask:0xf// 00000001E9D0: 7E8002FA FF0118F8
	v_mov_b32_dpp v65, v248 row_shl:8 row_mask:0xf bank_mask:0xf// 00000001E9D8: 7E8202FA FF0108F8
	v_mov_b32_dpp v66, v249 row_shr:8 row_mask:0xf bank_mask:0xf// 00000001E9E0: 7E8402FA FF0118F9
	v_mov_b32_dpp v67, v249 row_shl:8 row_mask:0xf bank_mask:0xf// 00000001E9E8: 7E8602FA FF0108F9
	v_mov_b32_e32 v68, v248                                    // 00000001E9F0: 7E8803F8
	v_mov_b32_e32 v69, v249                                    // 00000001E9F4: 7E8A03F9
	v_cndmask_b32_e64 v248, v68, v64, s[42:43]                 // 00000001E9F8: D10000F8 00AA8144
	v_cndmask_b32_e64 v250, v68, v65, s[78:79]                 // 00000001EA00: D10000FA 013A8344
	v_cndmask_b32_e64 v249, v69, v66, s[42:43]                 // 00000001EA08: D10000F9 00AA8545
	v_cndmask_b32_e64 v251, v69, v67, s[78:79]                 // 00000001EA10: D10000FB 013A8745
	v_mov_b32_dpp v64, v57 row_shr:4 row_mask:0xf bank_mask:0xf// 00000001EA18: 7E8002FA FF011439
	v_mov_b32_dpp v65, v57 row_shl:4 row_mask:0xf bank_mask:0xf// 00000001EA20: 7E8202FA FF010439
	v_cndmask_b32_e64 v252, v57, v64, s[44:45]                 // 00000001EA28: D10000FC 00B28139
	v_cndmask_b32_e64 v253, v65, v57, s[44:45]                 // 00000001EA30: D10000FD 00B27341
	v_mov_b32_dpp v64, v252 row_shr:8 row_mask:0xf bank_mask:0xf// 00000001EA38: 7E8002FA FF0118FC
	v_mov_b32_dpp v65, v252 row_shl:8 row_mask:0xf bank_mask:0xf// 00000001EA40: 7E8202FA FF0108FC
	v_mov_b32_dpp v66, v253 row_shr:8 row_mask:0xf bank_mask:0xf// 00000001EA48: 7E8402FA FF0118FD
	v_mov_b32_dpp v67, v253 row_shl:8 row_mask:0xf bank_mask:0xf// 00000001EA50: 7E8602FA FF0108FD
	v_mov_b32_e32 v68, v252                                    // 00000001EA58: 7E8803FC
	v_mov_b32_e32 v69, v253                                    // 00000001EA5C: 7E8A03FD
	v_cndmask_b32_e64 v252, v68, v64, s[42:43]                 // 00000001EA60: D10000FC 00AA8144
	v_cndmask_b32_e64 v254, v68, v65, s[78:79]                 // 00000001EA68: D10000FE 013A8344
	v_cndmask_b32_e64 v253, v69, v66, s[42:43]                 // 00000001EA70: D10000FD 00AA8545
	v_cndmask_b32_e64 v255, v69, v67, s[78:79]                 // 00000001EA78: D10000FF 013A8745
	v_mul_f32_e32 v128, v19, v128                              // 00000001EA80: 0B010113
	v_mul_f32_e32 v129, v19, v129                              // 00000001EA84: 0B030313
	v_mul_f32_e32 v130, v19, v130                              // 00000001EA88: 0B050513
	v_mul_f32_e32 v131, v19, v131                              // 00000001EA8C: 0B070713
	v_mul_f32_e32 v132, v19, v132                              // 00000001EA90: 0B090913
	v_mul_f32_e32 v133, v19, v133                              // 00000001EA94: 0B0B0B13
	v_mul_f32_e32 v134, v19, v134                              // 00000001EA98: 0B0D0D13
	v_mul_f32_e32 v135, v19, v135                              // 00000001EA9C: 0B0F0F13
	v_mul_f32_e32 v136, v19, v136                              // 00000001EAA0: 0B111113
	v_mul_f32_e32 v137, v19, v137                              // 00000001EAA4: 0B131313
	v_mul_f32_e32 v138, v19, v138                              // 00000001EAA8: 0B151513
	v_mul_f32_e32 v139, v19, v139                              // 00000001EAAC: 0B171713
	v_mul_f32_e32 v140, v19, v140                              // 00000001EAB0: 0B191913
	v_mul_f32_e32 v141, v19, v141                              // 00000001EAB4: 0B1B1B13
	v_mul_f32_e32 v142, v19, v142                              // 00000001EAB8: 0B1D1D13
	v_mul_f32_e32 v143, v19, v143                              // 00000001EABC: 0B1F1F13
	v_mul_f32_dpp v128, v248, v128 quad_perm:[0,0,0,0] row_mask:0xf bank_mask:0xf// 00000001EAC0: 0B0100FA FF0000F8
	v_mul_f32_dpp v129, v248, v129 quad_perm:[1,1,1,1] row_mask:0xf bank_mask:0xf// 00000001EAC8: 0B0302FA FF0055F8
	v_mul_f32_dpp v130, v248, v130 quad_perm:[2,2,2,2] row_mask:0xf bank_mask:0xf// 00000001EAD0: 0B0504FA FF00AAF8
	v_mul_f32_dpp v131, v248, v131 quad_perm:[3,3,3,3] row_mask:0xf bank_mask:0xf// 00000001EAD8: 0B0706FA FF00FFF8
	v_mul_f32_dpp v132, v249, v132 quad_perm:[0,0,0,0] row_mask:0xf bank_mask:0xf// 00000001EAE0: 0B0908FA FF0000F9
	v_mul_f32_dpp v133, v249, v133 quad_perm:[1,1,1,1] row_mask:0xf bank_mask:0xf// 00000001EAE8: 0B0B0AFA FF0055F9
	v_mul_f32_dpp v134, v249, v134 quad_perm:[2,2,2,2] row_mask:0xf bank_mask:0xf// 00000001EAF0: 0B0D0CFA FF00AAF9
	v_mul_f32_dpp v135, v249, v135 quad_perm:[3,3,3,3] row_mask:0xf bank_mask:0xf// 00000001EAF8: 0B0F0EFA FF00FFF9
	v_mul_f32_dpp v136, v250, v136 quad_perm:[0,0,0,0] row_mask:0xf bank_mask:0xf// 00000001EB00: 0B1110FA FF0000FA
	v_mul_f32_dpp v137, v250, v137 quad_perm:[1,1,1,1] row_mask:0xf bank_mask:0xf// 00000001EB08: 0B1312FA FF0055FA
	v_mul_f32_dpp v138, v250, v138 quad_perm:[2,2,2,2] row_mask:0xf bank_mask:0xf// 00000001EB10: 0B1514FA FF00AAFA
	v_mul_f32_dpp v139, v250, v139 quad_perm:[3,3,3,3] row_mask:0xf bank_mask:0xf// 00000001EB18: 0B1716FA FF00FFFA
	v_mul_f32_dpp v140, v251, v140 quad_perm:[0,0,0,0] row_mask:0xf bank_mask:0xf// 00000001EB20: 0B1918FA FF0000FB
	v_mul_f32_dpp v141, v251, v141 quad_perm:[1,1,1,1] row_mask:0xf bank_mask:0xf// 00000001EB28: 0B1B1AFA FF0055FB
	v_mul_f32_dpp v142, v251, v142 quad_perm:[2,2,2,2] row_mask:0xf bank_mask:0xf// 00000001EB30: 0B1D1CFA FF00AAFB
	v_mul_f32_dpp v143, v251, v143 quad_perm:[3,3,3,3] row_mask:0xf bank_mask:0xf// 00000001EB38: 0B1F1EFA FF00FFFB
	v_mov_b32_e32 v48, v128                                    // 00000001EB40: 7E600380
	v_max3_f32 v48, v128, v129, v48                            // 00000001EB44: D1D30030 04C30380
	v_max3_f32 v48, v130, v131, v48                            // 00000001EB4C: D1D30030 04C30782
	v_max3_f32 v48, v132, v133, v48                            // 00000001EB54: D1D30030 04C30B84
	v_max3_f32 v48, v134, v135, v48                            // 00000001EB5C: D1D30030 04C30F86
	v_max3_f32 v48, v136, v137, v48                            // 00000001EB64: D1D30030 04C31388
	v_max3_f32 v48, v138, v139, v48                            // 00000001EB6C: D1D30030 04C3178A
	v_max3_f32 v48, v140, v141, v48                            // 00000001EB74: D1D30030 04C31B8C
	v_max3_f32 v48, v142, v143, v48                            // 00000001EB7C: D1D30030 04C31F8E
	ds_write_b32 v8, v48 offset:16896                          // 00000001EB84: D81A4200 00003008
	v_mul_f32_e32 v216, v50, v216                              // 00000001EB8C: 0BB1B132
	v_mul_f32_e32 v217, v50, v217                              // 00000001EB90: 0BB3B332
	v_mul_f32_e32 v218, v50, v218                              // 00000001EB94: 0BB5B532
	v_mul_f32_e32 v219, v50, v219                              // 00000001EB98: 0BB7B732
	v_mul_f32_e32 v220, v50, v220                              // 00000001EB9C: 0BB9B932
	v_mul_f32_e32 v221, v50, v221                              // 00000001EBA0: 0BBBBB32
	v_mul_f32_e32 v222, v50, v222                              // 00000001EBA4: 0BBDBD32
	v_mul_f32_e32 v223, v50, v223                              // 00000001EBA8: 0BBFBF32
	s_waitcnt lgkmcnt(0)                                       // 00000001EBAC: BF8CC07F
	s_barrier                                                  // 00000001EBB0: BF8A0000
	ds_read_b32 v64, v7 offset:16896                           // 00000001EBB4: D86C4200 40000007
	ds_read_b32 v65, v7 offset:16960                           // 00000001EBBC: D86C4240 41000007
	ds_read_b32 v66, v7 offset:17024                           // 00000001EBC4: D86C4280 42000007
	ds_read_b32 v67, v7 offset:17088                           // 00000001EBCC: D86C42C0 43000007
	ds_read_b32 v68, v7 offset:17152                           // 00000001EBD4: D86C4300 44000007
	ds_read_b32 v69, v7 offset:17216                           // 00000001EBDC: D86C4340 45000007
	ds_read_b32 v70, v7 offset:17280                           // 00000001EBE4: D86C4380 46000007
	ds_read_b32 v71, v7 offset:17344                           // 00000001EBEC: D86C43C0 47000007
	ds_read_b32 v72, v7 offset:17408                           // 00000001EBF4: D86C4400 48000007
	ds_read_b32 v73, v7 offset:17472                           // 00000001EBFC: D86C4440 49000007
	ds_read_b32 v74, v7 offset:17536                           // 00000001EC04: D86C4480 4A000007
	ds_read_b32 v75, v7 offset:17600                           // 00000001EC0C: D86C44C0 4B000007
	ds_read_b32 v76, v7 offset:17664                           // 00000001EC14: D86C4500 4C000007
	ds_read_b32 v77, v7 offset:17728                           // 00000001EC1C: D86C4540 4D000007
	ds_read_b32 v78, v7 offset:17792                           // 00000001EC24: D86C4580 4E000007
	ds_read_b32 v79, v7 offset:17856                           // 00000001EC2C: D86C45C0 4F000007
	v_mul_f32_e32 v184, v45, v184                              // 00000001EC34: 0B71712D
	v_mul_f32_e32 v185, v45, v185                              // 00000001EC38: 0B73732D
	v_mul_f32_e32 v186, v45, v186                              // 00000001EC3C: 0B75752D
	v_mul_f32_e32 v187, v45, v187                              // 00000001EC40: 0B77772D
	v_mul_f32_e32 v188, v45, v188                              // 00000001EC44: 0B79792D
	v_mul_f32_e32 v189, v45, v189                              // 00000001EC48: 0B7B7B2D
	v_mul_f32_e32 v190, v45, v190                              // 00000001EC4C: 0B7D7D2D
	v_mul_f32_e32 v191, v45, v191                              // 00000001EC50: 0B7F7F2D
	s_waitcnt lgkmcnt(0)                                       // 00000001EC54: BF8CC07F
	v_max3_f32 v48, v64, v65, v48                              // 00000001EC58: D1D30030 04C28340
	v_max3_f32 v48, v66, v67, v48                              // 00000001EC60: D1D30030 04C28742
	v_max3_f32 v48, v68, v69, v48                              // 00000001EC68: D1D30030 04C28B44
	v_max3_f32 v48, v70, v71, v48                              // 00000001EC70: D1D30030 04C28F46
	v_max3_f32 v48, v72, v73, v48                              // 00000001EC78: D1D30030 04C29348
	v_max3_f32 v48, v74, v75, v48                              // 00000001EC80: D1D30030 04C2974A
	v_max3_f32 v48, v76, v77, v48                              // 00000001EC88: D1D30030 04C29B4C
	v_max3_f32 v48, v78, v79, v48                              // 00000001EC90: D1D30030 04C29F4E
	v_mov_b32_e32 v64, 0xff800000                              // 00000001EC98: 7E8002FF FF800000
	v_cmp_eq_u32_e64 s[40:41], v64, v12                        // 00000001ECA0: D0CA0028 00021940
	s_nop 1                                                    // 00000001ECA8: BF800001
	v_max_f32_e32 v15, v48, v12                                // 00000001ECAC: 161E1930
	v_mul_f32_e32 v53, s64, v15                                // 00000001ECB0: 0A6A1E40
	v_fma_f32 v128, v128, s64, -v53                            // 00000001ECB4: D1CB0080 84D48180
	v_fma_f32 v129, v129, s64, -v53                            // 00000001ECBC: D1CB0081 84D48181
	v_fma_f32 v130, v130, s64, -v53                            // 00000001ECC4: D1CB0082 84D48182
	v_fma_f32 v131, v131, s64, -v53                            // 00000001ECCC: D1CB0083 84D48183
	v_fma_f32 v132, v132, s64, -v53                            // 00000001ECD4: D1CB0084 84D48184
	v_fma_f32 v133, v133, s64, -v53                            // 00000001ECDC: D1CB0085 84D48185
	v_fma_f32 v134, v134, s64, -v53                            // 00000001ECE4: D1CB0086 84D48186
	v_fma_f32 v135, v135, s64, -v53                            // 00000001ECEC: D1CB0087 84D48187
	v_fma_f32 v136, v136, s64, -v53                            // 00000001ECF4: D1CB0088 84D48188
	v_fma_f32 v137, v137, s64, -v53                            // 00000001ECFC: D1CB0089 84D48189
	v_fma_f32 v138, v138, s64, -v53                            // 00000001ED04: D1CB008A 84D4818A
	v_fma_f32 v139, v139, s64, -v53                            // 00000001ED0C: D1CB008B 84D4818B
	v_fma_f32 v140, v140, s64, -v53                            // 00000001ED14: D1CB008C 84D4818C
	v_fma_f32 v141, v141, s64, -v53                            // 00000001ED1C: D1CB008D 84D4818D
	v_fma_f32 v142, v142, s64, -v53                            // 00000001ED24: D1CB008E 84D4818E
	v_fma_f32 v143, v143, s64, -v53                            // 00000001ED2C: D1CB008F 84D4818F
	v_exp_f32_e32 v128, v128                                   // 00000001ED34: 7F004180
	v_exp_f32_e32 v129, v129                                   // 00000001ED38: 7F024181
	v_exp_f32_e32 v130, v130                                   // 00000001ED3C: 7F044182
	v_exp_f32_e32 v131, v131                                   // 00000001ED40: 7F064183
	v_exp_f32_e32 v132, v132                                   // 00000001ED44: 7F084184
	v_exp_f32_e32 v133, v133                                   // 00000001ED48: 7F0A4185
	v_exp_f32_e32 v134, v134                                   // 00000001ED4C: 7F0C4186
	v_exp_f32_e32 v135, v135                                   // 00000001ED50: 7F0E4187
	v_exp_f32_e32 v136, v136                                   // 00000001ED54: 7F104188
	v_exp_f32_e32 v137, v137                                   // 00000001ED58: 7F124189
	v_exp_f32_e32 v138, v138                                   // 00000001ED5C: 7F14418A
	v_exp_f32_e32 v139, v139                                   // 00000001ED60: 7F16418B
	v_exp_f32_e32 v140, v140                                   // 00000001ED64: 7F18418C
	v_exp_f32_e32 v141, v141                                   // 00000001ED68: 7F1A418D
	v_exp_f32_e32 v142, v142                                   // 00000001ED6C: 7F1C418E
	v_exp_f32_e32 v143, v143                                   // 00000001ED70: 7F1E418F
	v_mul_f32_dpp v240, v252, v128 quad_perm:[0,0,0,0] row_mask:0xf bank_mask:0xf// 00000001ED74: 0BE100FA FF0000FC
	v_mul_f32_dpp v241, v252, v129 quad_perm:[1,1,1,1] row_mask:0xf bank_mask:0xf// 00000001ED7C: 0BE302FA FF0055FC
	v_mul_f32_dpp v242, v252, v130 quad_perm:[2,2,2,2] row_mask:0xf bank_mask:0xf// 00000001ED84: 0BE504FA FF00AAFC
	v_mul_f32_dpp v243, v252, v131 quad_perm:[3,3,3,3] row_mask:0xf bank_mask:0xf// 00000001ED8C: 0BE706FA FF00FFFC
	v_mul_f32_dpp v244, v253, v132 quad_perm:[0,0,0,0] row_mask:0xf bank_mask:0xf// 00000001ED94: 0BE908FA FF0000FD
	v_mul_f32_dpp v245, v253, v133 quad_perm:[1,1,1,1] row_mask:0xf bank_mask:0xf// 00000001ED9C: 0BEB0AFA FF0055FD
	v_mul_f32_dpp v246, v253, v134 quad_perm:[2,2,2,2] row_mask:0xf bank_mask:0xf// 00000001EDA4: 0BED0CFA FF00AAFD
	v_mul_f32_dpp v247, v253, v135 quad_perm:[3,3,3,3] row_mask:0xf bank_mask:0xf// 00000001EDAC: 0BEF0EFA FF00FFFD
	v_mul_f32_dpp v248, v254, v136 quad_perm:[0,0,0,0] row_mask:0xf bank_mask:0xf// 00000001EDB4: 0BF110FA FF0000FE
	v_mul_f32_dpp v249, v254, v137 quad_perm:[1,1,1,1] row_mask:0xf bank_mask:0xf// 00000001EDBC: 0BF312FA FF0055FE
	v_mul_f32_dpp v250, v254, v138 quad_perm:[2,2,2,2] row_mask:0xf bank_mask:0xf// 00000001EDC4: 0BF514FA FF00AAFE
	v_mul_f32_dpp v251, v254, v139 quad_perm:[3,3,3,3] row_mask:0xf bank_mask:0xf// 00000001EDCC: 0BF716FA FF00FFFE
	v_mul_f32_dpp v252, v255, v140 quad_perm:[0,0,0,0] row_mask:0xf bank_mask:0xf// 00000001EDD4: 0BF918FA FF0000FF
	v_mul_f32_dpp v253, v255, v141 quad_perm:[1,1,1,1] row_mask:0xf bank_mask:0xf// 00000001EDDC: 0BFB1AFA FF0055FF
	v_mul_f32_dpp v254, v255, v142 quad_perm:[2,2,2,2] row_mask:0xf bank_mask:0xf// 00000001EDE4: 0BFD1CFA FF00AAFF
	v_mul_f32_dpp v255, v255, v143 quad_perm:[3,3,3,3] row_mask:0xf bank_mask:0xf// 00000001EDEC: 0BFF1EFA FF00FFFF
	v_mov_b32_e32 v48, 0x358637bd                              // 00000001EDF4: 7E6002FF 358637BD
	v_max3_f32 v48, |v240|, |v241|, v48                        // 00000001EDFC: D1D30330 04C3E3F0
	v_max3_f32 v48, |v242|, |v243|, v48                        // 00000001EE04: D1D30330 04C3E7F2
	v_max3_f32 v48, |v244|, |v245|, v48                        // 00000001EE0C: D1D30330 04C3EBF4
	v_max3_f32 v48, |v246|, |v247|, v48                        // 00000001EE14: D1D30330 04C3EFF6
	v_max3_f32 v48, |v248|, |v249|, v48                        // 00000001EE1C: D1D30330 04C3F3F8
	v_max3_f32 v48, |v250|, |v251|, v48                        // 00000001EE24: D1D30330 04C3F7FA
	v_max3_f32 v48, |v252|, |v253|, v48                        // 00000001EE2C: D1D30330 04C3FBFC
	v_max3_f32 v48, |v254|, |v255|, v48                        // 00000001EE34: D1D30330 04C3FFFE
	ds_write_b32 v8, v48 offset:20992                          // 00000001EE3C: D81A5200 00003008
	v_sub_f32_e32 v50, v12, v15                                // 00000001EE44: 04641F0C
	v_cndmask_b32_e64 v50, v50, 0, s[40:41]                    // 00000001EE48: D1000032 00A10132
	v_mov_b32_e32 v12, v15                                     // 00000001EE50: 7E18030F
	v_mul_f32_e32 v50, s64, v50                                // 00000001EE54: 0A646440
	v_exp_f32_e32 v50, v50                                     // 00000001EE58: 7E644132
	s_waitcnt lgkmcnt(0)                                       // 00000001EE5C: BF8CC07F
	s_barrier                                                  // 00000001EE60: BF8A0000
	ds_read_b32 v64, v7 offset:20992                           // 00000001EE64: D86C5200 40000007
	ds_read_b32 v65, v7 offset:21056                           // 00000001EE6C: D86C5240 41000007
	ds_read_b32 v66, v7 offset:21120                           // 00000001EE74: D86C5280 42000007
	ds_read_b32 v67, v7 offset:21184                           // 00000001EE7C: D86C52C0 43000007
	ds_read_b32 v68, v7 offset:21248                           // 00000001EE84: D86C5300 44000007
	ds_read_b32 v69, v7 offset:21312                           // 00000001EE8C: D86C5340 45000007
	ds_read_b32 v70, v7 offset:21376                           // 00000001EE94: D86C5380 46000007
	ds_read_b32 v71, v7 offset:21440                           // 00000001EE9C: D86C53C0 47000007
	ds_read_b32 v72, v7 offset:21504                           // 00000001EEA4: D86C5400 48000007
	ds_read_b32 v73, v7 offset:21568                           // 00000001EEAC: D86C5440 49000007
	ds_read_b32 v74, v7 offset:21632                           // 00000001EEB4: D86C5480 4A000007
	ds_read_b32 v75, v7 offset:21696                           // 00000001EEBC: D86C54C0 4B000007
	ds_read_b32 v76, v7 offset:21760                           // 00000001EEC4: D86C5500 4C000007
	ds_read_b32 v77, v7 offset:21824                           // 00000001EECC: D86C5540 4D000007
	ds_read_b32 v78, v7 offset:21888                           // 00000001EED4: D86C5580 4E000007
	ds_read_b32 v79, v7 offset:21952                           // 00000001EEDC: D86C55C0 4F000007
	v_mul_f32_e32 v39, v50, v39                                // 00000001EEE4: 0A4E4F32
	v_mov_b32_e32 v15, v128                                    // 00000001EEE8: 7E1E0380
	v_add_f32_e32 v15, v129, v15                               // 00000001EEEC: 021E1F81
	v_add_f32_e32 v15, v130, v15                               // 00000001EEF0: 021E1F82
	v_add_f32_e32 v15, v131, v15                               // 00000001EEF4: 021E1F83
	v_add_f32_e32 v15, v132, v15                               // 00000001EEF8: 021E1F84
	v_add_f32_e32 v15, v133, v15                               // 00000001EEFC: 021E1F85
	v_add_f32_e32 v15, v134, v15                               // 00000001EF00: 021E1F86
	v_add_f32_e32 v15, v135, v15                               // 00000001EF04: 021E1F87
	v_add_f32_e32 v15, v136, v15                               // 00000001EF08: 021E1F88
	v_add_f32_e32 v15, v137, v15                               // 00000001EF0C: 021E1F89
	v_add_f32_e32 v15, v138, v15                               // 00000001EF10: 021E1F8A
	v_add_f32_e32 v15, v139, v15                               // 00000001EF14: 021E1F8B
	v_add_f32_e32 v15, v140, v15                               // 00000001EF18: 021E1F8C
	v_add_f32_e32 v15, v141, v15                               // 00000001EF1C: 021E1F8D
	v_add_f32_e32 v15, v142, v15                               // 00000001EF20: 021E1F8E
	v_add_f32_e32 v15, v143, v15                               // 00000001EF24: 021E1F8F
	v_add_f32_e32 v39, v15, v39                                // 00000001EF28: 024E4F0F
	s_waitcnt lgkmcnt(0)                                       // 00000001EF2C: BF8CC07F
	v_max3_f32 v48, |v64|, |v65|, v48                          // 00000001EF30: D1D30330 04C28340
	v_max3_f32 v48, |v66|, |v67|, v48                          // 00000001EF38: D1D30330 04C28742
	v_max3_f32 v48, |v68|, |v69|, v48                          // 00000001EF40: D1D30330 04C28B44
	v_max3_f32 v48, |v70|, |v71|, v48                          // 00000001EF48: D1D30330 04C28F46
	v_max3_f32 v48, |v72|, |v73|, v48                          // 00000001EF50: D1D30330 04C29348
	v_max3_f32 v48, |v74|, |v75|, v48                          // 00000001EF58: D1D30330 04C2974A
	v_max3_f32 v48, |v76|, |v77|, v48                          // 00000001EF60: D1D30330 04C29B4C
	v_max3_f32 v48, |v78|, |v79|, v48                          // 00000001EF68: D1D30330 04C29F4E
	s_nop 2                                                    // 00000001EF70: BF800002
	v_rcp_f32_e32 v48, v48                                     // 00000001EF74: 7E604530
	s_nop 1                                                    // 00000001EF78: BF800001
	v_mul_f32_e32 v48, 0x43e00000, v48                         // 00000001EF7C: 0A6060FF 43E00000
	v_mul_f32_e32 v128, v48, v240                              // 00000001EF84: 0B01E130
	v_mul_f32_e32 v129, v48, v241                              // 00000001EF88: 0B03E330
	v_mul_f32_e32 v130, v48, v242                              // 00000001EF8C: 0B05E530
	v_mul_f32_e32 v131, v48, v243                              // 00000001EF90: 0B07E730
	v_mul_f32_e32 v132, v48, v244                              // 00000001EF94: 0B09E930
	v_mul_f32_e32 v133, v48, v245                              // 00000001EF98: 0B0BEB30
	v_mul_f32_e32 v134, v48, v246                              // 00000001EF9C: 0B0DED30
	v_mul_f32_e32 v135, v48, v247                              // 00000001EFA0: 0B0FEF30
	v_mul_f32_e32 v136, v48, v248                              // 00000001EFA4: 0B11F130
	v_mul_f32_e32 v137, v48, v249                              // 00000001EFA8: 0B13F330
	v_mul_f32_e32 v138, v48, v250                              // 00000001EFAC: 0B15F530
	v_mul_f32_e32 v139, v48, v251                              // 00000001EFB0: 0B17F730
	v_mul_f32_e32 v140, v48, v252                              // 00000001EFB4: 0B19F930
	v_mul_f32_e32 v141, v48, v253                              // 00000001EFB8: 0B1BFB30
	v_mul_f32_e32 v142, v48, v254                              // 00000001EFBC: 0B1DFD30
	v_mul_f32_e32 v143, v48, v255                              // 00000001EFC0: 0B1FFF30
	v_cvt_pk_fp8_f32 v128, v128, v129                          // 00000001EFC4: D2A20080 00030380
	v_cvt_pk_fp8_f32 v128, v130, v131 op_sel:[0,0,1]           // 00000001EFCC: D2A24080 00030782
	v_cvt_pk_fp8_f32 v129, v132, v133                          // 00000001EFD4: D2A20081 00030B84
	v_cvt_pk_fp8_f32 v129, v134, v135 op_sel:[0,0,1]           // 00000001EFDC: D2A24081 00030F86
	v_cvt_pk_fp8_f32 v130, v136, v137                          // 00000001EFE4: D2A20082 00031388
	v_cvt_pk_fp8_f32 v130, v138, v139 op_sel:[0,0,1]           // 00000001EFEC: D2A24082 0003178A
	v_cvt_pk_fp8_f32 v131, v140, v141                          // 00000001EFF4: D2A20083 00031B8C
	v_cvt_pk_fp8_f32 v131, v142, v143 op_sel:[0,0,1]           // 00000001EFFC: D2A24083 00031F8E
	ds_write_b32 v10, v128 offset:29184                        // 00000001F004: D81A7200 0000800A
	ds_write_b32 v10, v129 offset:30208                        // 00000001F00C: D81A7600 0000810A
	ds_write_b32 v10, v130 offset:31232                        // 00000001F014: D81A7A00 0000820A
	ds_write_b32 v10, v131 offset:32256                        // 00000001F01C: D81A7E00 0000830A
	v_add_f32_e32 v216, v216, v184                             // 00000001F024: 03B171D8
	v_add_f32_e32 v217, v217, v185                             // 00000001F028: 03B373D9
	v_add_f32_e32 v218, v218, v186                             // 00000001F02C: 03B575DA
	v_add_f32_e32 v219, v219, v187                             // 00000001F030: 03B777DB
	v_add_f32_e32 v220, v220, v188                             // 00000001F034: 03B979DC
	v_add_f32_e32 v221, v221, v189                             // 00000001F038: 03BB7BDD
	v_add_f32_e32 v222, v222, v190                             // 00000001F03C: 03BD7DDE
	v_add_f32_e32 v223, v223, v191                             // 00000001F040: 03BF7FDF
	v_rcp_f32_e32 v45, v48                                     // 00000001F044: 7E5A4530
	s_waitcnt lgkmcnt(0)                                       // 00000001F048: BF8CC07F
	s_barrier                                                  // 00000001F04C: BF8A0000
	ds_read_b64 v[128:129], v9 offset:29184                    // 00000001F050: D8EC7200 80000009
	ds_read_b64 v[130:131], v9 offset:29312                    // 00000001F058: D8EC7280 82000009
	ds_read_b64 v[132:133], v9 offset:30208                    // 00000001F060: D8EC7600 84000009
	ds_read_b64 v[134:135], v9 offset:30336                    // 00000001F068: D8EC7680 86000009
	ds_read_b64 v[136:137], v9 offset:31232                    // 00000001F070: D8EC7A00 88000009
	ds_read_b64 v[138:139], v9 offset:31360                    // 00000001F078: D8EC7A80 8A000009
	ds_read_b64 v[140:141], v9 offset:32256                    // 00000001F080: D8EC7E00 8C000009
	ds_read_b64 v[142:143], v9 offset:32384                    // 00000001F088: D8EC7E80 8E000009
	v_mov_b32_dpp v64, v42 row_shr:4 row_mask:0xf bank_mask:0xf// 00000001F090: 7E8002FA FF01142A
	v_mov_b32_dpp v65, v42 row_shl:4 row_mask:0xf bank_mask:0xf// 00000001F098: 7E8202FA FF01042A
	v_cndmask_b32_e64 v248, v42, v64, s[44:45]                 // 00000001F0A0: D10000F8 00B2812A
	v_cndmask_b32_e64 v249, v65, v42, s[44:45]                 // 00000001F0A8: D10000F9 00B25541
	v_mov_b32_dpp v64, v248 row_shr:8 row_mask:0xf bank_mask:0xf// 00000001F0B0: 7E8002FA FF0118F8
	v_mov_b32_dpp v65, v248 row_shl:8 row_mask:0xf bank_mask:0xf// 00000001F0B8: 7E8202FA FF0108F8
	v_mov_b32_dpp v66, v249 row_shr:8 row_mask:0xf bank_mask:0xf// 00000001F0C0: 7E8402FA FF0118F9
	v_mov_b32_dpp v67, v249 row_shl:8 row_mask:0xf bank_mask:0xf// 00000001F0C8: 7E8602FA FF0108F9
	v_mov_b32_e32 v68, v248                                    // 00000001F0D0: 7E8803F8
	v_mov_b32_e32 v69, v249                                    // 00000001F0D4: 7E8A03F9
	v_cndmask_b32_e64 v248, v68, v64, s[42:43]                 // 00000001F0D8: D10000F8 00AA8144
	v_cndmask_b32_e64 v250, v68, v65, s[78:79]                 // 00000001F0E0: D10000FA 013A8344
	v_cndmask_b32_e64 v249, v69, v66, s[42:43]                 // 00000001F0E8: D10000F9 00AA8545
	v_cndmask_b32_e64 v251, v69, v67, s[78:79]                 // 00000001F0F0: D10000FB 013A8745
	v_mov_b32_dpp v64, v57 row_shr:4 row_mask:0xf bank_mask:0xf// 00000001F0F8: 7E8002FA FF011439
	v_mov_b32_dpp v65, v57 row_shl:4 row_mask:0xf bank_mask:0xf// 00000001F100: 7E8202FA FF010439
	v_cndmask_b32_e64 v252, v57, v64, s[44:45]                 // 00000001F108: D10000FC 00B28139
	v_cndmask_b32_e64 v253, v65, v57, s[44:45]                 // 00000001F110: D10000FD 00B27341
	v_mov_b32_dpp v64, v252 row_shr:8 row_mask:0xf bank_mask:0xf// 00000001F118: 7E8002FA FF0118FC
	v_mov_b32_dpp v65, v252 row_shl:8 row_mask:0xf bank_mask:0xf// 00000001F120: 7E8202FA FF0108FC
	v_mov_b32_dpp v66, v253 row_shr:8 row_mask:0xf bank_mask:0xf// 00000001F128: 7E8402FA FF0118FD
	v_mov_b32_dpp v67, v253 row_shl:8 row_mask:0xf bank_mask:0xf// 00000001F130: 7E8602FA FF0108FD
	v_mov_b32_e32 v68, v252                                    // 00000001F138: 7E8803FC
	v_mov_b32_e32 v69, v253                                    // 00000001F13C: 7E8A03FD
	v_cndmask_b32_e64 v252, v68, v64, s[42:43]                 // 00000001F140: D10000FC 00AA8144
	v_cndmask_b32_e64 v254, v68, v65, s[78:79]                 // 00000001F148: D10000FE 013A8344
	v_cndmask_b32_e64 v253, v69, v66, s[42:43]                 // 00000001F150: D10000FD 00AA8545
	v_cndmask_b32_e64 v255, v69, v67, s[78:79]                 // 00000001F158: D10000FF 013A8745
	v_mul_f32_e32 v144, v20, v144                              // 00000001F160: 0B212114
	v_mul_f32_e32 v145, v20, v145                              // 00000001F164: 0B232314
	v_mul_f32_e32 v146, v20, v146                              // 00000001F168: 0B252514
	v_mul_f32_e32 v147, v20, v147                              // 00000001F16C: 0B272714
	v_mul_f32_e32 v148, v20, v148                              // 00000001F170: 0B292914
	v_mul_f32_e32 v149, v20, v149                              // 00000001F174: 0B2B2B14
	v_mul_f32_e32 v150, v20, v150                              // 00000001F178: 0B2D2D14
	v_mul_f32_e32 v151, v20, v151                              // 00000001F17C: 0B2F2F14
	v_mul_f32_e32 v152, v20, v152                              // 00000001F180: 0B313114
	v_mul_f32_e32 v153, v20, v153                              // 00000001F184: 0B333314
	v_mul_f32_e32 v154, v20, v154                              // 00000001F188: 0B353514
	v_mul_f32_e32 v155, v20, v155                              // 00000001F18C: 0B373714
	v_mul_f32_e32 v156, v20, v156                              // 00000001F190: 0B393914
	v_mul_f32_e32 v157, v20, v157                              // 00000001F194: 0B3B3B14
	v_mul_f32_e32 v158, v20, v158                              // 00000001F198: 0B3D3D14
	v_mul_f32_e32 v159, v20, v159                              // 00000001F19C: 0B3F3F14
	v_mul_f32_dpp v144, v248, v144 quad_perm:[0,0,0,0] row_mask:0xf bank_mask:0xf// 00000001F1A0: 0B2120FA FF0000F8
	v_mul_f32_dpp v145, v248, v145 quad_perm:[1,1,1,1] row_mask:0xf bank_mask:0xf// 00000001F1A8: 0B2322FA FF0055F8
	v_mul_f32_dpp v146, v248, v146 quad_perm:[2,2,2,2] row_mask:0xf bank_mask:0xf// 00000001F1B0: 0B2524FA FF00AAF8
	v_mul_f32_dpp v147, v248, v147 quad_perm:[3,3,3,3] row_mask:0xf bank_mask:0xf// 00000001F1B8: 0B2726FA FF00FFF8
	v_mul_f32_dpp v148, v249, v148 quad_perm:[0,0,0,0] row_mask:0xf bank_mask:0xf// 00000001F1C0: 0B2928FA FF0000F9
	v_mul_f32_dpp v149, v249, v149 quad_perm:[1,1,1,1] row_mask:0xf bank_mask:0xf// 00000001F1C8: 0B2B2AFA FF0055F9
	v_mul_f32_dpp v150, v249, v150 quad_perm:[2,2,2,2] row_mask:0xf bank_mask:0xf// 00000001F1D0: 0B2D2CFA FF00AAF9
	v_mul_f32_dpp v151, v249, v151 quad_perm:[3,3,3,3] row_mask:0xf bank_mask:0xf// 00000001F1D8: 0B2F2EFA FF00FFF9
	v_mul_f32_dpp v152, v250, v152 quad_perm:[0,0,0,0] row_mask:0xf bank_mask:0xf// 00000001F1E0: 0B3130FA FF0000FA
	v_mul_f32_dpp v153, v250, v153 quad_perm:[1,1,1,1] row_mask:0xf bank_mask:0xf// 00000001F1E8: 0B3332FA FF0055FA
	v_mul_f32_dpp v154, v250, v154 quad_perm:[2,2,2,2] row_mask:0xf bank_mask:0xf// 00000001F1F0: 0B3534FA FF00AAFA
	v_mul_f32_dpp v155, v250, v155 quad_perm:[3,3,3,3] row_mask:0xf bank_mask:0xf// 00000001F1F8: 0B3736FA FF00FFFA
	v_mul_f32_dpp v156, v251, v156 quad_perm:[0,0,0,0] row_mask:0xf bank_mask:0xf// 00000001F200: 0B3938FA FF0000FB
	v_mul_f32_dpp v157, v251, v157 quad_perm:[1,1,1,1] row_mask:0xf bank_mask:0xf// 00000001F208: 0B3B3AFA FF0055FB
	v_mul_f32_dpp v158, v251, v158 quad_perm:[2,2,2,2] row_mask:0xf bank_mask:0xf// 00000001F210: 0B3D3CFA FF00AAFB
	v_mul_f32_dpp v159, v251, v159 quad_perm:[3,3,3,3] row_mask:0xf bank_mask:0xf// 00000001F218: 0B3F3EFA FF00FFFB
	v_mov_b32_e32 v48, v144                                    // 00000001F220: 7E600390
	v_max3_f32 v48, v144, v145, v48                            // 00000001F224: D1D30030 04C32390
	v_max3_f32 v48, v146, v147, v48                            // 00000001F22C: D1D30030 04C32792
	v_max3_f32 v48, v148, v149, v48                            // 00000001F234: D1D30030 04C32B94
	v_max3_f32 v48, v150, v151, v48                            // 00000001F23C: D1D30030 04C32F96
	v_max3_f32 v48, v152, v153, v48                            // 00000001F244: D1D30030 04C33398
	v_max3_f32 v48, v154, v155, v48                            // 00000001F24C: D1D30030 04C3379A
	v_max3_f32 v48, v156, v157, v48                            // 00000001F254: D1D30030 04C33B9C
	v_max3_f32 v48, v158, v159, v48                            // 00000001F25C: D1D30030 04C33F9E
	ds_write_b32 v8, v48 offset:16896                          // 00000001F264: D81A4200 00003008
	v_mul_f32_e32 v224, v51, v224                              // 00000001F26C: 0BC1C133
	v_mul_f32_e32 v225, v51, v225                              // 00000001F270: 0BC3C333
	v_mul_f32_e32 v226, v51, v226                              // 00000001F274: 0BC5C533
	v_mul_f32_e32 v227, v51, v227                              // 00000001F278: 0BC7C733
	v_mul_f32_e32 v228, v51, v228                              // 00000001F27C: 0BC9C933
	v_mul_f32_e32 v229, v51, v229                              // 00000001F280: 0BCBCB33
	v_mul_f32_e32 v230, v51, v230                              // 00000001F284: 0BCDCD33
	v_mul_f32_e32 v231, v51, v231                              // 00000001F288: 0BCFCF33
	s_waitcnt lgkmcnt(0)                                       // 00000001F28C: BF8CC07F
	s_barrier                                                  // 00000001F290: BF8A0000
	ds_read_b32 v64, v7 offset:16896                           // 00000001F294: D86C4200 40000007
	ds_read_b32 v65, v7 offset:16960                           // 00000001F29C: D86C4240 41000007
	ds_read_b32 v66, v7 offset:17024                           // 00000001F2A4: D86C4280 42000007
	ds_read_b32 v67, v7 offset:17088                           // 00000001F2AC: D86C42C0 43000007
	ds_read_b32 v68, v7 offset:17152                           // 00000001F2B4: D86C4300 44000007
	ds_read_b32 v69, v7 offset:17216                           // 00000001F2BC: D86C4340 45000007
	ds_read_b32 v70, v7 offset:17280                           // 00000001F2C4: D86C4380 46000007
	ds_read_b32 v71, v7 offset:17344                           // 00000001F2CC: D86C43C0 47000007
	ds_read_b32 v72, v7 offset:17408                           // 00000001F2D4: D86C4400 48000007
	ds_read_b32 v73, v7 offset:17472                           // 00000001F2DC: D86C4440 49000007
	ds_read_b32 v74, v7 offset:17536                           // 00000001F2E4: D86C4480 4A000007
	ds_read_b32 v75, v7 offset:17600                           // 00000001F2EC: D86C44C0 4B000007
	ds_read_b32 v76, v7 offset:17664                           // 00000001F2F4: D86C4500 4C000007
	ds_read_b32 v77, v7 offset:17728                           // 00000001F2FC: D86C4540 4D000007
	ds_read_b32 v78, v7 offset:17792                           // 00000001F304: D86C4580 4E000007
	ds_read_b32 v79, v7 offset:17856                           // 00000001F30C: D86C45C0 4F000007
	v_mul_f32_e32 v192, v46, v192                              // 00000001F314: 0B81812E
	v_mul_f32_e32 v193, v46, v193                              // 00000001F318: 0B83832E
	v_mul_f32_e32 v194, v46, v194                              // 00000001F31C: 0B85852E
	v_mul_f32_e32 v195, v46, v195                              // 00000001F320: 0B87872E
	v_mul_f32_e32 v196, v46, v196                              // 00000001F324: 0B89892E
	v_mul_f32_e32 v197, v46, v197                              // 00000001F328: 0B8B8B2E
	v_mul_f32_e32 v198, v46, v198                              // 00000001F32C: 0B8D8D2E
	v_mul_f32_e32 v199, v46, v199                              // 00000001F330: 0B8F8F2E
	s_waitcnt lgkmcnt(0)                                       // 00000001F334: BF8CC07F
	v_max3_f32 v48, v64, v65, v48                              // 00000001F338: D1D30030 04C28340
	v_max3_f32 v48, v66, v67, v48                              // 00000001F340: D1D30030 04C28742
	v_max3_f32 v48, v68, v69, v48                              // 00000001F348: D1D30030 04C28B44
	v_max3_f32 v48, v70, v71, v48                              // 00000001F350: D1D30030 04C28F46
	v_max3_f32 v48, v72, v73, v48                              // 00000001F358: D1D30030 04C29348
	v_max3_f32 v48, v74, v75, v48                              // 00000001F360: D1D30030 04C2974A
	v_max3_f32 v48, v76, v77, v48                              // 00000001F368: D1D30030 04C29B4C
	v_max3_f32 v48, v78, v79, v48                              // 00000001F370: D1D30030 04C29F4E
	v_mov_b32_e32 v64, 0xff800000                              // 00000001F378: 7E8002FF FF800000
	v_cmp_eq_u32_e64 s[40:41], v64, v13                        // 00000001F380: D0CA0028 00021B40
	s_nop 1                                                    // 00000001F388: BF800001
	v_max_f32_e32 v15, v48, v13                                // 00000001F38C: 161E1B30
	v_mul_f32_e32 v53, s64, v15                                // 00000001F390: 0A6A1E40
	v_fma_f32 v144, v144, s64, -v53                            // 00000001F394: D1CB0090 84D48190
	v_fma_f32 v145, v145, s64, -v53                            // 00000001F39C: D1CB0091 84D48191
	v_fma_f32 v146, v146, s64, -v53                            // 00000001F3A4: D1CB0092 84D48192
	v_fma_f32 v147, v147, s64, -v53                            // 00000001F3AC: D1CB0093 84D48193
	v_fma_f32 v148, v148, s64, -v53                            // 00000001F3B4: D1CB0094 84D48194
	v_fma_f32 v149, v149, s64, -v53                            // 00000001F3BC: D1CB0095 84D48195
	v_fma_f32 v150, v150, s64, -v53                            // 00000001F3C4: D1CB0096 84D48196
	v_fma_f32 v151, v151, s64, -v53                            // 00000001F3CC: D1CB0097 84D48197
	v_fma_f32 v152, v152, s64, -v53                            // 00000001F3D4: D1CB0098 84D48198
	v_fma_f32 v153, v153, s64, -v53                            // 00000001F3DC: D1CB0099 84D48199
	v_fma_f32 v154, v154, s64, -v53                            // 00000001F3E4: D1CB009A 84D4819A
	v_fma_f32 v155, v155, s64, -v53                            // 00000001F3EC: D1CB009B 84D4819B
	v_fma_f32 v156, v156, s64, -v53                            // 00000001F3F4: D1CB009C 84D4819C
	v_fma_f32 v157, v157, s64, -v53                            // 00000001F3FC: D1CB009D 84D4819D
	v_fma_f32 v158, v158, s64, -v53                            // 00000001F404: D1CB009E 84D4819E
	v_fma_f32 v159, v159, s64, -v53                            // 00000001F40C: D1CB009F 84D4819F
	v_exp_f32_e32 v144, v144                                   // 00000001F414: 7F204190
	v_exp_f32_e32 v145, v145                                   // 00000001F418: 7F224191
	v_exp_f32_e32 v146, v146                                   // 00000001F41C: 7F244192
	v_exp_f32_e32 v147, v147                                   // 00000001F420: 7F264193
	v_exp_f32_e32 v148, v148                                   // 00000001F424: 7F284194
	v_exp_f32_e32 v149, v149                                   // 00000001F428: 7F2A4195
	v_exp_f32_e32 v150, v150                                   // 00000001F42C: 7F2C4196
	v_exp_f32_e32 v151, v151                                   // 00000001F430: 7F2E4197
	v_exp_f32_e32 v152, v152                                   // 00000001F434: 7F304198
	v_exp_f32_e32 v153, v153                                   // 00000001F438: 7F324199
	v_exp_f32_e32 v154, v154                                   // 00000001F43C: 7F34419A
	v_exp_f32_e32 v155, v155                                   // 00000001F440: 7F36419B
	v_exp_f32_e32 v156, v156                                   // 00000001F444: 7F38419C
	v_exp_f32_e32 v157, v157                                   // 00000001F448: 7F3A419D
	v_exp_f32_e32 v158, v158                                   // 00000001F44C: 7F3C419E
	v_exp_f32_e32 v159, v159                                   // 00000001F450: 7F3E419F
	v_mul_f32_dpp v240, v252, v144 quad_perm:[0,0,0,0] row_mask:0xf bank_mask:0xf// 00000001F454: 0BE120FA FF0000FC
	v_mul_f32_dpp v241, v252, v145 quad_perm:[1,1,1,1] row_mask:0xf bank_mask:0xf// 00000001F45C: 0BE322FA FF0055FC
	v_mul_f32_dpp v242, v252, v146 quad_perm:[2,2,2,2] row_mask:0xf bank_mask:0xf// 00000001F464: 0BE524FA FF00AAFC
	v_mul_f32_dpp v243, v252, v147 quad_perm:[3,3,3,3] row_mask:0xf bank_mask:0xf// 00000001F46C: 0BE726FA FF00FFFC
	v_mul_f32_dpp v244, v253, v148 quad_perm:[0,0,0,0] row_mask:0xf bank_mask:0xf// 00000001F474: 0BE928FA FF0000FD
	v_mul_f32_dpp v245, v253, v149 quad_perm:[1,1,1,1] row_mask:0xf bank_mask:0xf// 00000001F47C: 0BEB2AFA FF0055FD
	v_mul_f32_dpp v246, v253, v150 quad_perm:[2,2,2,2] row_mask:0xf bank_mask:0xf// 00000001F484: 0BED2CFA FF00AAFD
	v_mul_f32_dpp v247, v253, v151 quad_perm:[3,3,3,3] row_mask:0xf bank_mask:0xf// 00000001F48C: 0BEF2EFA FF00FFFD
	v_mul_f32_dpp v248, v254, v152 quad_perm:[0,0,0,0] row_mask:0xf bank_mask:0xf// 00000001F494: 0BF130FA FF0000FE
	v_mul_f32_dpp v249, v254, v153 quad_perm:[1,1,1,1] row_mask:0xf bank_mask:0xf// 00000001F49C: 0BF332FA FF0055FE
	v_mul_f32_dpp v250, v254, v154 quad_perm:[2,2,2,2] row_mask:0xf bank_mask:0xf// 00000001F4A4: 0BF534FA FF00AAFE
	v_mul_f32_dpp v251, v254, v155 quad_perm:[3,3,3,3] row_mask:0xf bank_mask:0xf// 00000001F4AC: 0BF736FA FF00FFFE
	v_mul_f32_dpp v252, v255, v156 quad_perm:[0,0,0,0] row_mask:0xf bank_mask:0xf// 00000001F4B4: 0BF938FA FF0000FF
	v_mul_f32_dpp v253, v255, v157 quad_perm:[1,1,1,1] row_mask:0xf bank_mask:0xf// 00000001F4BC: 0BFB3AFA FF0055FF
	v_mul_f32_dpp v254, v255, v158 quad_perm:[2,2,2,2] row_mask:0xf bank_mask:0xf// 00000001F4C4: 0BFD3CFA FF00AAFF
	v_mul_f32_dpp v255, v255, v159 quad_perm:[3,3,3,3] row_mask:0xf bank_mask:0xf// 00000001F4CC: 0BFF3EFA FF00FFFF
	v_mov_b32_e32 v48, 0x358637bd                              // 00000001F4D4: 7E6002FF 358637BD
	v_max3_f32 v48, |v240|, |v241|, v48                        // 00000001F4DC: D1D30330 04C3E3F0
	v_max3_f32 v48, |v242|, |v243|, v48                        // 00000001F4E4: D1D30330 04C3E7F2
	v_max3_f32 v48, |v244|, |v245|, v48                        // 00000001F4EC: D1D30330 04C3EBF4
	v_max3_f32 v48, |v246|, |v247|, v48                        // 00000001F4F4: D1D30330 04C3EFF6
	v_max3_f32 v48, |v248|, |v249|, v48                        // 00000001F4FC: D1D30330 04C3F3F8
	v_max3_f32 v48, |v250|, |v251|, v48                        // 00000001F504: D1D30330 04C3F7FA
	v_max3_f32 v48, |v252|, |v253|, v48                        // 00000001F50C: D1D30330 04C3FBFC
	v_max3_f32 v48, |v254|, |v255|, v48                        // 00000001F514: D1D30330 04C3FFFE
	ds_write_b32 v8, v48 offset:20992                          // 00000001F51C: D81A5200 00003008
	v_sub_f32_e32 v51, v13, v15                                // 00000001F524: 04661F0D
	v_cndmask_b32_e64 v51, v51, 0, s[40:41]                    // 00000001F528: D1000033 00A10133
	v_mov_b32_e32 v13, v15                                     // 00000001F530: 7E1A030F
	v_mul_f32_e32 v51, s64, v51                                // 00000001F534: 0A666640
	v_exp_f32_e32 v51, v51                                     // 00000001F538: 7E664133
	s_waitcnt lgkmcnt(0)                                       // 00000001F53C: BF8CC07F
	s_barrier                                                  // 00000001F540: BF8A0000
	ds_read_b32 v64, v7 offset:20992                           // 00000001F544: D86C5200 40000007
	ds_read_b32 v65, v7 offset:21056                           // 00000001F54C: D86C5240 41000007
	ds_read_b32 v66, v7 offset:21120                           // 00000001F554: D86C5280 42000007
	ds_read_b32 v67, v7 offset:21184                           // 00000001F55C: D86C52C0 43000007
	ds_read_b32 v68, v7 offset:21248                           // 00000001F564: D86C5300 44000007
	ds_read_b32 v69, v7 offset:21312                           // 00000001F56C: D86C5340 45000007
	ds_read_b32 v70, v7 offset:21376                           // 00000001F574: D86C5380 46000007
	ds_read_b32 v71, v7 offset:21440                           // 00000001F57C: D86C53C0 47000007
	ds_read_b32 v72, v7 offset:21504                           // 00000001F584: D86C5400 48000007
	ds_read_b32 v73, v7 offset:21568                           // 00000001F58C: D86C5440 49000007
	ds_read_b32 v74, v7 offset:21632                           // 00000001F594: D86C5480 4A000007
	ds_read_b32 v75, v7 offset:21696                           // 00000001F59C: D86C54C0 4B000007
	ds_read_b32 v76, v7 offset:21760                           // 00000001F5A4: D86C5500 4C000007
	ds_read_b32 v77, v7 offset:21824                           // 00000001F5AC: D86C5540 4D000007
	ds_read_b32 v78, v7 offset:21888                           // 00000001F5B4: D86C5580 4E000007
	ds_read_b32 v79, v7 offset:21952                           // 00000001F5BC: D86C55C0 4F000007
	v_mul_f32_e32 v40, v51, v40                                // 00000001F5C4: 0A505133
	v_mov_b32_e32 v15, v144                                    // 00000001F5C8: 7E1E0390
	v_add_f32_e32 v15, v145, v15                               // 00000001F5CC: 021E1F91
	v_add_f32_e32 v15, v146, v15                               // 00000001F5D0: 021E1F92
	v_add_f32_e32 v15, v147, v15                               // 00000001F5D4: 021E1F93
	v_add_f32_e32 v15, v148, v15                               // 00000001F5D8: 021E1F94
	v_add_f32_e32 v15, v149, v15                               // 00000001F5DC: 021E1F95
	v_add_f32_e32 v15, v150, v15                               // 00000001F5E0: 021E1F96
	v_add_f32_e32 v15, v151, v15                               // 00000001F5E4: 021E1F97
	v_add_f32_e32 v15, v152, v15                               // 00000001F5E8: 021E1F98
	v_add_f32_e32 v15, v153, v15                               // 00000001F5EC: 021E1F99
	v_add_f32_e32 v15, v154, v15                               // 00000001F5F0: 021E1F9A
	v_add_f32_e32 v15, v155, v15                               // 00000001F5F4: 021E1F9B
	v_add_f32_e32 v15, v156, v15                               // 00000001F5F8: 021E1F9C
	v_add_f32_e32 v15, v157, v15                               // 00000001F5FC: 021E1F9D
	v_add_f32_e32 v15, v158, v15                               // 00000001F600: 021E1F9E
	v_add_f32_e32 v15, v159, v15                               // 00000001F604: 021E1F9F
	v_add_f32_e32 v40, v15, v40                                // 00000001F608: 0250510F
	s_waitcnt lgkmcnt(0)                                       // 00000001F60C: BF8CC07F
	v_max3_f32 v48, |v64|, |v65|, v48                          // 00000001F610: D1D30330 04C28340
	v_max3_f32 v48, |v66|, |v67|, v48                          // 00000001F618: D1D30330 04C28742
	v_max3_f32 v48, |v68|, |v69|, v48                          // 00000001F620: D1D30330 04C28B44
	v_max3_f32 v48, |v70|, |v71|, v48                          // 00000001F628: D1D30330 04C28F46
	v_max3_f32 v48, |v72|, |v73|, v48                          // 00000001F630: D1D30330 04C29348
	v_max3_f32 v48, |v74|, |v75|, v48                          // 00000001F638: D1D30330 04C2974A
	v_max3_f32 v48, |v76|, |v77|, v48                          // 00000001F640: D1D30330 04C29B4C
	v_max3_f32 v48, |v78|, |v79|, v48                          // 00000001F648: D1D30330 04C29F4E
	s_nop 2                                                    // 00000001F650: BF800002
	v_rcp_f32_e32 v48, v48                                     // 00000001F654: 7E604530
	s_nop 1                                                    // 00000001F658: BF800001
	v_mul_f32_e32 v48, 0x43e00000, v48                         // 00000001F65C: 0A6060FF 43E00000
	v_mul_f32_e32 v144, v48, v240                              // 00000001F664: 0B21E130
	v_mul_f32_e32 v145, v48, v241                              // 00000001F668: 0B23E330
	v_mul_f32_e32 v146, v48, v242                              // 00000001F66C: 0B25E530
	v_mul_f32_e32 v147, v48, v243                              // 00000001F670: 0B27E730
	v_mul_f32_e32 v148, v48, v244                              // 00000001F674: 0B29E930
	v_mul_f32_e32 v149, v48, v245                              // 00000001F678: 0B2BEB30
	v_mul_f32_e32 v150, v48, v246                              // 00000001F67C: 0B2DED30
	v_mul_f32_e32 v151, v48, v247                              // 00000001F680: 0B2FEF30
	v_mul_f32_e32 v152, v48, v248                              // 00000001F684: 0B31F130
	v_mul_f32_e32 v153, v48, v249                              // 00000001F688: 0B33F330
	v_mul_f32_e32 v154, v48, v250                              // 00000001F68C: 0B35F530
	v_mul_f32_e32 v155, v48, v251                              // 00000001F690: 0B37F730
	v_mul_f32_e32 v156, v48, v252                              // 00000001F694: 0B39F930
	v_mul_f32_e32 v157, v48, v253                              // 00000001F698: 0B3BFB30
	v_mul_f32_e32 v158, v48, v254                              // 00000001F69C: 0B3DFD30
	v_mul_f32_e32 v159, v48, v255                              // 00000001F6A0: 0B3FFF30
	v_cvt_pk_fp8_f32 v144, v144, v145                          // 00000001F6A4: D2A20090 00032390
	v_cvt_pk_fp8_f32 v144, v146, v147 op_sel:[0,0,1]           // 00000001F6AC: D2A24090 00032792
	v_cvt_pk_fp8_f32 v145, v148, v149                          // 00000001F6B4: D2A20091 00032B94
	v_cvt_pk_fp8_f32 v145, v150, v151 op_sel:[0,0,1]           // 00000001F6BC: D2A24091 00032F96
	v_cvt_pk_fp8_f32 v146, v152, v153                          // 00000001F6C4: D2A20092 00033398
	v_cvt_pk_fp8_f32 v146, v154, v155 op_sel:[0,0,1]           // 00000001F6CC: D2A24092 0003379A
	v_cvt_pk_fp8_f32 v147, v156, v157                          // 00000001F6D4: D2A20093 00033B9C
	v_cvt_pk_fp8_f32 v147, v158, v159 op_sel:[0,0,1]           // 00000001F6DC: D2A24093 00033F9E
	ds_write_b32 v10, v144 offset:33280                        // 00000001F6E4: D81A8200 0000900A
	ds_write_b32 v10, v145 offset:34304                        // 00000001F6EC: D81A8600 0000910A
	ds_write_b32 v10, v146 offset:35328                        // 00000001F6F4: D81A8A00 0000920A
	ds_write_b32 v10, v147 offset:36352                        // 00000001F6FC: D81A8E00 0000930A
	v_add_f32_e32 v224, v224, v192                             // 00000001F704: 03C181E0
	v_add_f32_e32 v225, v225, v193                             // 00000001F708: 03C383E1
	v_add_f32_e32 v226, v226, v194                             // 00000001F70C: 03C585E2
	v_add_f32_e32 v227, v227, v195                             // 00000001F710: 03C787E3
	v_add_f32_e32 v228, v228, v196                             // 00000001F714: 03C989E4
	v_add_f32_e32 v229, v229, v197                             // 00000001F718: 03CB8BE5
	v_add_f32_e32 v230, v230, v198                             // 00000001F71C: 03CD8DE6
	v_add_f32_e32 v231, v231, v199                             // 00000001F720: 03CF8FE7
	v_rcp_f32_e32 v46, v48                                     // 00000001F724: 7E5C4530
	s_waitcnt lgkmcnt(0)                                       // 00000001F728: BF8CC07F
	s_barrier                                                  // 00000001F72C: BF8A0000
	ds_read_b64 v[144:145], v9 offset:33280                    // 00000001F730: D8EC8200 90000009
	ds_read_b64 v[146:147], v9 offset:33408                    // 00000001F738: D8EC8280 92000009
	ds_read_b64 v[148:149], v9 offset:34304                    // 00000001F740: D8EC8600 94000009
	ds_read_b64 v[150:151], v9 offset:34432                    // 00000001F748: D8EC8680 96000009
	ds_read_b64 v[152:153], v9 offset:35328                    // 00000001F750: D8EC8A00 98000009
	ds_read_b64 v[154:155], v9 offset:35456                    // 00000001F758: D8EC8A80 9A000009
	ds_read_b64 v[156:157], v9 offset:36352                    // 00000001F760: D8EC8E00 9C000009
	ds_read_b64 v[158:159], v9 offset:36480                    // 00000001F768: D8EC8E80 9E000009
	v_mov_b32_dpp v64, v42 row_shr:4 row_mask:0xf bank_mask:0xf// 00000001F770: 7E8002FA FF01142A
	v_mov_b32_dpp v65, v42 row_shl:4 row_mask:0xf bank_mask:0xf// 00000001F778: 7E8202FA FF01042A
	v_cndmask_b32_e64 v248, v42, v64, s[44:45]                 // 00000001F780: D10000F8 00B2812A
	v_cndmask_b32_e64 v249, v65, v42, s[44:45]                 // 00000001F788: D10000F9 00B25541
	v_mov_b32_dpp v64, v248 row_shr:8 row_mask:0xf bank_mask:0xf// 00000001F790: 7E8002FA FF0118F8
	v_mov_b32_dpp v65, v248 row_shl:8 row_mask:0xf bank_mask:0xf// 00000001F798: 7E8202FA FF0108F8
	v_mov_b32_dpp v66, v249 row_shr:8 row_mask:0xf bank_mask:0xf// 00000001F7A0: 7E8402FA FF0118F9
	v_mov_b32_dpp v67, v249 row_shl:8 row_mask:0xf bank_mask:0xf// 00000001F7A8: 7E8602FA FF0108F9
	v_mov_b32_e32 v68, v248                                    // 00000001F7B0: 7E8803F8
	v_mov_b32_e32 v69, v249                                    // 00000001F7B4: 7E8A03F9
	v_cndmask_b32_e64 v248, v68, v64, s[42:43]                 // 00000001F7B8: D10000F8 00AA8144
	v_cndmask_b32_e64 v250, v68, v65, s[78:79]                 // 00000001F7C0: D10000FA 013A8344
	v_cndmask_b32_e64 v249, v69, v66, s[42:43]                 // 00000001F7C8: D10000F9 00AA8545
	v_cndmask_b32_e64 v251, v69, v67, s[78:79]                 // 00000001F7D0: D10000FB 013A8745
	v_mov_b32_dpp v64, v57 row_shr:4 row_mask:0xf bank_mask:0xf// 00000001F7D8: 7E8002FA FF011439
	v_mov_b32_dpp v65, v57 row_shl:4 row_mask:0xf bank_mask:0xf// 00000001F7E0: 7E8202FA FF010439
	v_cndmask_b32_e64 v252, v57, v64, s[44:45]                 // 00000001F7E8: D10000FC 00B28139
	v_cndmask_b32_e64 v253, v65, v57, s[44:45]                 // 00000001F7F0: D10000FD 00B27341
	v_mov_b32_dpp v64, v252 row_shr:8 row_mask:0xf bank_mask:0xf// 00000001F7F8: 7E8002FA FF0118FC
	v_mov_b32_dpp v65, v252 row_shl:8 row_mask:0xf bank_mask:0xf// 00000001F800: 7E8202FA FF0108FC
	v_mov_b32_dpp v66, v253 row_shr:8 row_mask:0xf bank_mask:0xf// 00000001F808: 7E8402FA FF0118FD
	v_mov_b32_dpp v67, v253 row_shl:8 row_mask:0xf bank_mask:0xf// 00000001F810: 7E8602FA FF0108FD
	v_mov_b32_e32 v68, v252                                    // 00000001F818: 7E8803FC
	v_mov_b32_e32 v69, v253                                    // 00000001F81C: 7E8A03FD
	v_cndmask_b32_e64 v252, v68, v64, s[42:43]                 // 00000001F820: D10000FC 00AA8144
	v_cndmask_b32_e64 v254, v68, v65, s[78:79]                 // 00000001F828: D10000FE 013A8344
	v_cndmask_b32_e64 v253, v69, v66, s[42:43]                 // 00000001F830: D10000FD 00AA8545
	v_cndmask_b32_e64 v255, v69, v67, s[78:79]                 // 00000001F838: D10000FF 013A8745
	v_mul_f32_e32 v160, v21, v160                              // 00000001F840: 0B414115
	v_mul_f32_e32 v161, v21, v161                              // 00000001F844: 0B434315
	v_mul_f32_e32 v162, v21, v162                              // 00000001F848: 0B454515
	v_mul_f32_e32 v163, v21, v163                              // 00000001F84C: 0B474715
	v_mul_f32_e32 v164, v21, v164                              // 00000001F850: 0B494915
	v_mul_f32_e32 v165, v21, v165                              // 00000001F854: 0B4B4B15
	v_mul_f32_e32 v166, v21, v166                              // 00000001F858: 0B4D4D15
	v_mul_f32_e32 v167, v21, v167                              // 00000001F85C: 0B4F4F15
	v_mul_f32_e32 v168, v21, v168                              // 00000001F860: 0B515115
	v_mul_f32_e32 v169, v21, v169                              // 00000001F864: 0B535315
	v_mul_f32_e32 v170, v21, v170                              // 00000001F868: 0B555515
	v_mul_f32_e32 v171, v21, v171                              // 00000001F86C: 0B575715
	v_mul_f32_e32 v172, v21, v172                              // 00000001F870: 0B595915
	v_mul_f32_e32 v173, v21, v173                              // 00000001F874: 0B5B5B15
	v_mul_f32_e32 v174, v21, v174                              // 00000001F878: 0B5D5D15
	v_mul_f32_e32 v175, v21, v175                              // 00000001F87C: 0B5F5F15
	v_mul_f32_dpp v160, v248, v160 quad_perm:[0,0,0,0] row_mask:0xf bank_mask:0xf// 00000001F880: 0B4140FA FF0000F8
	v_mul_f32_dpp v161, v248, v161 quad_perm:[1,1,1,1] row_mask:0xf bank_mask:0xf// 00000001F888: 0B4342FA FF0055F8
	v_mul_f32_dpp v162, v248, v162 quad_perm:[2,2,2,2] row_mask:0xf bank_mask:0xf// 00000001F890: 0B4544FA FF00AAF8
	v_mul_f32_dpp v163, v248, v163 quad_perm:[3,3,3,3] row_mask:0xf bank_mask:0xf// 00000001F898: 0B4746FA FF00FFF8
	v_mul_f32_dpp v164, v249, v164 quad_perm:[0,0,0,0] row_mask:0xf bank_mask:0xf// 00000001F8A0: 0B4948FA FF0000F9
	v_mul_f32_dpp v165, v249, v165 quad_perm:[1,1,1,1] row_mask:0xf bank_mask:0xf// 00000001F8A8: 0B4B4AFA FF0055F9
	v_mul_f32_dpp v166, v249, v166 quad_perm:[2,2,2,2] row_mask:0xf bank_mask:0xf// 00000001F8B0: 0B4D4CFA FF00AAF9
	v_mul_f32_dpp v167, v249, v167 quad_perm:[3,3,3,3] row_mask:0xf bank_mask:0xf// 00000001F8B8: 0B4F4EFA FF00FFF9
	v_mul_f32_dpp v168, v250, v168 quad_perm:[0,0,0,0] row_mask:0xf bank_mask:0xf// 00000001F8C0: 0B5150FA FF0000FA
	v_mul_f32_dpp v169, v250, v169 quad_perm:[1,1,1,1] row_mask:0xf bank_mask:0xf// 00000001F8C8: 0B5352FA FF0055FA
	v_mul_f32_dpp v170, v250, v170 quad_perm:[2,2,2,2] row_mask:0xf bank_mask:0xf// 00000001F8D0: 0B5554FA FF00AAFA
	v_mul_f32_dpp v171, v250, v171 quad_perm:[3,3,3,3] row_mask:0xf bank_mask:0xf// 00000001F8D8: 0B5756FA FF00FFFA
	v_mul_f32_dpp v172, v251, v172 quad_perm:[0,0,0,0] row_mask:0xf bank_mask:0xf// 00000001F8E0: 0B5958FA FF0000FB
	v_mul_f32_dpp v173, v251, v173 quad_perm:[1,1,1,1] row_mask:0xf bank_mask:0xf// 00000001F8E8: 0B5B5AFA FF0055FB
	v_mul_f32_dpp v174, v251, v174 quad_perm:[2,2,2,2] row_mask:0xf bank_mask:0xf// 00000001F8F0: 0B5D5CFA FF00AAFB
	v_mul_f32_dpp v175, v251, v175 quad_perm:[3,3,3,3] row_mask:0xf bank_mask:0xf// 00000001F8F8: 0B5F5EFA FF00FFFB
	v_mov_b32_e32 v48, v160                                    // 00000001F900: 7E6003A0
	v_max3_f32 v48, v160, v161, v48                            // 00000001F904: D1D30030 04C343A0
	v_max3_f32 v48, v162, v163, v48                            // 00000001F90C: D1D30030 04C347A2
	v_max3_f32 v48, v164, v165, v48                            // 00000001F914: D1D30030 04C34BA4
	v_max3_f32 v48, v166, v167, v48                            // 00000001F91C: D1D30030 04C34FA6
	v_max3_f32 v48, v168, v169, v48                            // 00000001F924: D1D30030 04C353A8
	v_max3_f32 v48, v170, v171, v48                            // 00000001F92C: D1D30030 04C357AA
	v_max3_f32 v48, v172, v173, v48                            // 00000001F934: D1D30030 04C35BAC
	v_max3_f32 v48, v174, v175, v48                            // 00000001F93C: D1D30030 04C35FAE
	ds_write_b32 v8, v48 offset:16896                          // 00000001F944: D81A4200 00003008
	v_mul_f32_e32 v232, v52, v232                              // 00000001F94C: 0BD1D134
	v_mul_f32_e32 v233, v52, v233                              // 00000001F950: 0BD3D334
	v_mul_f32_e32 v234, v52, v234                              // 00000001F954: 0BD5D534
	v_mul_f32_e32 v235, v52, v235                              // 00000001F958: 0BD7D734
	v_mul_f32_e32 v236, v52, v236                              // 00000001F95C: 0BD9D934
	v_mul_f32_e32 v237, v52, v237                              // 00000001F960: 0BDBDB34
	v_mul_f32_e32 v238, v52, v238                              // 00000001F964: 0BDDDD34
	v_mul_f32_e32 v239, v52, v239                              // 00000001F968: 0BDFDF34
	s_waitcnt lgkmcnt(0)                                       // 00000001F96C: BF8CC07F
	s_barrier                                                  // 00000001F970: BF8A0000
	ds_read_b32 v64, v7 offset:16896                           // 00000001F974: D86C4200 40000007
	ds_read_b32 v65, v7 offset:16960                           // 00000001F97C: D86C4240 41000007
	ds_read_b32 v66, v7 offset:17024                           // 00000001F984: D86C4280 42000007
	ds_read_b32 v67, v7 offset:17088                           // 00000001F98C: D86C42C0 43000007
	ds_read_b32 v68, v7 offset:17152                           // 00000001F994: D86C4300 44000007
	ds_read_b32 v69, v7 offset:17216                           // 00000001F99C: D86C4340 45000007
	ds_read_b32 v70, v7 offset:17280                           // 00000001F9A4: D86C4380 46000007
	ds_read_b32 v71, v7 offset:17344                           // 00000001F9AC: D86C43C0 47000007
	ds_read_b32 v72, v7 offset:17408                           // 00000001F9B4: D86C4400 48000007
	ds_read_b32 v73, v7 offset:17472                           // 00000001F9BC: D86C4440 49000007
	ds_read_b32 v74, v7 offset:17536                           // 00000001F9C4: D86C4480 4A000007
	ds_read_b32 v75, v7 offset:17600                           // 00000001F9CC: D86C44C0 4B000007
	ds_read_b32 v76, v7 offset:17664                           // 00000001F9D4: D86C4500 4C000007
	ds_read_b32 v77, v7 offset:17728                           // 00000001F9DC: D86C4540 4D000007
	ds_read_b32 v78, v7 offset:17792                           // 00000001F9E4: D86C4580 4E000007
	ds_read_b32 v79, v7 offset:17856                           // 00000001F9EC: D86C45C0 4F000007
	v_mul_f32_e32 v200, v47, v200                              // 00000001F9F4: 0B91912F
	v_mul_f32_e32 v201, v47, v201                              // 00000001F9F8: 0B93932F
	v_mul_f32_e32 v202, v47, v202                              // 00000001F9FC: 0B95952F
	v_mul_f32_e32 v203, v47, v203                              // 00000001FA00: 0B97972F
	v_mul_f32_e32 v204, v47, v204                              // 00000001FA04: 0B99992F
	v_mul_f32_e32 v205, v47, v205                              // 00000001FA08: 0B9B9B2F
	v_mul_f32_e32 v206, v47, v206                              // 00000001FA0C: 0B9D9D2F
	v_mul_f32_e32 v207, v47, v207                              // 00000001FA10: 0B9F9F2F
	s_waitcnt lgkmcnt(0)                                       // 00000001FA14: BF8CC07F
	v_max3_f32 v48, v64, v65, v48                              // 00000001FA18: D1D30030 04C28340
	v_max3_f32 v48, v66, v67, v48                              // 00000001FA20: D1D30030 04C28742
	v_max3_f32 v48, v68, v69, v48                              // 00000001FA28: D1D30030 04C28B44
	v_max3_f32 v48, v70, v71, v48                              // 00000001FA30: D1D30030 04C28F46
	v_max3_f32 v48, v72, v73, v48                              // 00000001FA38: D1D30030 04C29348
	v_max3_f32 v48, v74, v75, v48                              // 00000001FA40: D1D30030 04C2974A
	v_max3_f32 v48, v76, v77, v48                              // 00000001FA48: D1D30030 04C29B4C
	v_max3_f32 v48, v78, v79, v48                              // 00000001FA50: D1D30030 04C29F4E
	v_mov_b32_e32 v64, 0xff800000                              // 00000001FA58: 7E8002FF FF800000
	v_cmp_eq_u32_e64 s[40:41], v64, v14                        // 00000001FA60: D0CA0028 00021D40
	s_nop 1                                                    // 00000001FA68: BF800001
	v_max_f32_e32 v15, v48, v14                                // 00000001FA6C: 161E1D30
	v_mul_f32_e32 v53, s64, v15                                // 00000001FA70: 0A6A1E40
	v_fma_f32 v160, v160, s64, -v53                            // 00000001FA74: D1CB00A0 84D481A0
	v_fma_f32 v161, v161, s64, -v53                            // 00000001FA7C: D1CB00A1 84D481A1
	v_fma_f32 v162, v162, s64, -v53                            // 00000001FA84: D1CB00A2 84D481A2
	v_fma_f32 v163, v163, s64, -v53                            // 00000001FA8C: D1CB00A3 84D481A3
	v_fma_f32 v164, v164, s64, -v53                            // 00000001FA94: D1CB00A4 84D481A4
	v_fma_f32 v165, v165, s64, -v53                            // 00000001FA9C: D1CB00A5 84D481A5
	v_fma_f32 v166, v166, s64, -v53                            // 00000001FAA4: D1CB00A6 84D481A6
	v_fma_f32 v167, v167, s64, -v53                            // 00000001FAAC: D1CB00A7 84D481A7
	v_fma_f32 v168, v168, s64, -v53                            // 00000001FAB4: D1CB00A8 84D481A8
	v_fma_f32 v169, v169, s64, -v53                            // 00000001FABC: D1CB00A9 84D481A9
	v_fma_f32 v170, v170, s64, -v53                            // 00000001FAC4: D1CB00AA 84D481AA
	v_fma_f32 v171, v171, s64, -v53                            // 00000001FACC: D1CB00AB 84D481AB
	v_fma_f32 v172, v172, s64, -v53                            // 00000001FAD4: D1CB00AC 84D481AC
	v_fma_f32 v173, v173, s64, -v53                            // 00000001FADC: D1CB00AD 84D481AD
	v_fma_f32 v174, v174, s64, -v53                            // 00000001FAE4: D1CB00AE 84D481AE
	v_fma_f32 v175, v175, s64, -v53                            // 00000001FAEC: D1CB00AF 84D481AF
	v_exp_f32_e32 v160, v160                                   // 00000001FAF4: 7F4041A0
	v_exp_f32_e32 v161, v161                                   // 00000001FAF8: 7F4241A1
	v_exp_f32_e32 v162, v162                                   // 00000001FAFC: 7F4441A2
	v_exp_f32_e32 v163, v163                                   // 00000001FB00: 7F4641A3
	v_exp_f32_e32 v164, v164                                   // 00000001FB04: 7F4841A4
	v_exp_f32_e32 v165, v165                                   // 00000001FB08: 7F4A41A5
	v_exp_f32_e32 v166, v166                                   // 00000001FB0C: 7F4C41A6
	v_exp_f32_e32 v167, v167                                   // 00000001FB10: 7F4E41A7
	v_exp_f32_e32 v168, v168                                   // 00000001FB14: 7F5041A8
	v_exp_f32_e32 v169, v169                                   // 00000001FB18: 7F5241A9
	v_exp_f32_e32 v170, v170                                   // 00000001FB1C: 7F5441AA
	v_exp_f32_e32 v171, v171                                   // 00000001FB20: 7F5641AB
	v_exp_f32_e32 v172, v172                                   // 00000001FB24: 7F5841AC
	v_exp_f32_e32 v173, v173                                   // 00000001FB28: 7F5A41AD
	v_exp_f32_e32 v174, v174                                   // 00000001FB2C: 7F5C41AE
	v_exp_f32_e32 v175, v175                                   // 00000001FB30: 7F5E41AF
	v_mul_f32_dpp v240, v252, v160 quad_perm:[0,0,0,0] row_mask:0xf bank_mask:0xf// 00000001FB34: 0BE140FA FF0000FC
	v_mul_f32_dpp v241, v252, v161 quad_perm:[1,1,1,1] row_mask:0xf bank_mask:0xf// 00000001FB3C: 0BE342FA FF0055FC
	v_mul_f32_dpp v242, v252, v162 quad_perm:[2,2,2,2] row_mask:0xf bank_mask:0xf// 00000001FB44: 0BE544FA FF00AAFC
	v_mul_f32_dpp v243, v252, v163 quad_perm:[3,3,3,3] row_mask:0xf bank_mask:0xf// 00000001FB4C: 0BE746FA FF00FFFC
	v_mul_f32_dpp v244, v253, v164 quad_perm:[0,0,0,0] row_mask:0xf bank_mask:0xf// 00000001FB54: 0BE948FA FF0000FD
	v_mul_f32_dpp v245, v253, v165 quad_perm:[1,1,1,1] row_mask:0xf bank_mask:0xf// 00000001FB5C: 0BEB4AFA FF0055FD
	v_mul_f32_dpp v246, v253, v166 quad_perm:[2,2,2,2] row_mask:0xf bank_mask:0xf// 00000001FB64: 0BED4CFA FF00AAFD
	v_mul_f32_dpp v247, v253, v167 quad_perm:[3,3,3,3] row_mask:0xf bank_mask:0xf// 00000001FB6C: 0BEF4EFA FF00FFFD
	v_mul_f32_dpp v248, v254, v168 quad_perm:[0,0,0,0] row_mask:0xf bank_mask:0xf// 00000001FB74: 0BF150FA FF0000FE
	v_mul_f32_dpp v249, v254, v169 quad_perm:[1,1,1,1] row_mask:0xf bank_mask:0xf// 00000001FB7C: 0BF352FA FF0055FE
	v_mul_f32_dpp v250, v254, v170 quad_perm:[2,2,2,2] row_mask:0xf bank_mask:0xf// 00000001FB84: 0BF554FA FF00AAFE
	v_mul_f32_dpp v251, v254, v171 quad_perm:[3,3,3,3] row_mask:0xf bank_mask:0xf// 00000001FB8C: 0BF756FA FF00FFFE
	v_mul_f32_dpp v252, v255, v172 quad_perm:[0,0,0,0] row_mask:0xf bank_mask:0xf// 00000001FB94: 0BF958FA FF0000FF
	v_mul_f32_dpp v253, v255, v173 quad_perm:[1,1,1,1] row_mask:0xf bank_mask:0xf// 00000001FB9C: 0BFB5AFA FF0055FF
	v_mul_f32_dpp v254, v255, v174 quad_perm:[2,2,2,2] row_mask:0xf bank_mask:0xf// 00000001FBA4: 0BFD5CFA FF00AAFF
	v_mul_f32_dpp v255, v255, v175 quad_perm:[3,3,3,3] row_mask:0xf bank_mask:0xf// 00000001FBAC: 0BFF5EFA FF00FFFF
	v_mov_b32_e32 v48, 0x358637bd                              // 00000001FBB4: 7E6002FF 358637BD
	v_max3_f32 v48, |v240|, |v241|, v48                        // 00000001FBBC: D1D30330 04C3E3F0
	v_max3_f32 v48, |v242|, |v243|, v48                        // 00000001FBC4: D1D30330 04C3E7F2
	v_max3_f32 v48, |v244|, |v245|, v48                        // 00000001FBCC: D1D30330 04C3EBF4
	v_max3_f32 v48, |v246|, |v247|, v48                        // 00000001FBD4: D1D30330 04C3EFF6
	v_max3_f32 v48, |v248|, |v249|, v48                        // 00000001FBDC: D1D30330 04C3F3F8
	v_max3_f32 v48, |v250|, |v251|, v48                        // 00000001FBE4: D1D30330 04C3F7FA
	v_max3_f32 v48, |v252|, |v253|, v48                        // 00000001FBEC: D1D30330 04C3FBFC
	v_max3_f32 v48, |v254|, |v255|, v48                        // 00000001FBF4: D1D30330 04C3FFFE
	ds_write_b32 v8, v48 offset:20992                          // 00000001FBFC: D81A5200 00003008
	v_sub_f32_e32 v52, v14, v15                                // 00000001FC04: 04681F0E
	v_cndmask_b32_e64 v52, v52, 0, s[40:41]                    // 00000001FC08: D1000034 00A10134
	v_mov_b32_e32 v14, v15                                     // 00000001FC10: 7E1C030F
	v_mul_f32_e32 v52, s64, v52                                // 00000001FC14: 0A686840
	v_exp_f32_e32 v52, v52                                     // 00000001FC18: 7E684134
	s_waitcnt lgkmcnt(0)                                       // 00000001FC1C: BF8CC07F
	s_barrier                                                  // 00000001FC20: BF8A0000
	ds_read_b32 v64, v7 offset:20992                           // 00000001FC24: D86C5200 40000007
	ds_read_b32 v65, v7 offset:21056                           // 00000001FC2C: D86C5240 41000007
	ds_read_b32 v66, v7 offset:21120                           // 00000001FC34: D86C5280 42000007
	ds_read_b32 v67, v7 offset:21184                           // 00000001FC3C: D86C52C0 43000007
	ds_read_b32 v68, v7 offset:21248                           // 00000001FC44: D86C5300 44000007
	ds_read_b32 v69, v7 offset:21312                           // 00000001FC4C: D86C5340 45000007
	ds_read_b32 v70, v7 offset:21376                           // 00000001FC54: D86C5380 46000007
	ds_read_b32 v71, v7 offset:21440                           // 00000001FC5C: D86C53C0 47000007
	ds_read_b32 v72, v7 offset:21504                           // 00000001FC64: D86C5400 48000007
	ds_read_b32 v73, v7 offset:21568                           // 00000001FC6C: D86C5440 49000007
	ds_read_b32 v74, v7 offset:21632                           // 00000001FC74: D86C5480 4A000007
	ds_read_b32 v75, v7 offset:21696                           // 00000001FC7C: D86C54C0 4B000007
	ds_read_b32 v76, v7 offset:21760                           // 00000001FC84: D86C5500 4C000007
	ds_read_b32 v77, v7 offset:21824                           // 00000001FC8C: D86C5540 4D000007
	ds_read_b32 v78, v7 offset:21888                           // 00000001FC94: D86C5580 4E000007
	ds_read_b32 v79, v7 offset:21952                           // 00000001FC9C: D86C55C0 4F000007
	v_mul_f32_e32 v41, v52, v41                                // 00000001FCA4: 0A525334
	v_mov_b32_e32 v15, v160                                    // 00000001FCA8: 7E1E03A0
	v_add_f32_e32 v15, v161, v15                               // 00000001FCAC: 021E1FA1
	v_add_f32_e32 v15, v162, v15                               // 00000001FCB0: 021E1FA2
	v_add_f32_e32 v15, v163, v15                               // 00000001FCB4: 021E1FA3
	v_add_f32_e32 v15, v164, v15                               // 00000001FCB8: 021E1FA4
	v_add_f32_e32 v15, v165, v15                               // 00000001FCBC: 021E1FA5
	v_add_f32_e32 v15, v166, v15                               // 00000001FCC0: 021E1FA6
	v_add_f32_e32 v15, v167, v15                               // 00000001FCC4: 021E1FA7
	v_add_f32_e32 v15, v168, v15                               // 00000001FCC8: 021E1FA8
	v_add_f32_e32 v15, v169, v15                               // 00000001FCCC: 021E1FA9
	v_add_f32_e32 v15, v170, v15                               // 00000001FCD0: 021E1FAA
	v_add_f32_e32 v15, v171, v15                               // 00000001FCD4: 021E1FAB
	v_add_f32_e32 v15, v172, v15                               // 00000001FCD8: 021E1FAC
	v_add_f32_e32 v15, v173, v15                               // 00000001FCDC: 021E1FAD
	v_add_f32_e32 v15, v174, v15                               // 00000001FCE0: 021E1FAE
	v_add_f32_e32 v15, v175, v15                               // 00000001FCE4: 021E1FAF
	v_add_f32_e32 v41, v15, v41                                // 00000001FCE8: 0252530F
	s_waitcnt lgkmcnt(0)                                       // 00000001FCEC: BF8CC07F
	v_max3_f32 v48, |v64|, |v65|, v48                          // 00000001FCF0: D1D30330 04C28340
	v_max3_f32 v48, |v66|, |v67|, v48                          // 00000001FCF8: D1D30330 04C28742
	v_max3_f32 v48, |v68|, |v69|, v48                          // 00000001FD00: D1D30330 04C28B44
	v_max3_f32 v48, |v70|, |v71|, v48                          // 00000001FD08: D1D30330 04C28F46
	v_max3_f32 v48, |v72|, |v73|, v48                          // 00000001FD10: D1D30330 04C29348
	v_max3_f32 v48, |v74|, |v75|, v48                          // 00000001FD18: D1D30330 04C2974A
	v_max3_f32 v48, |v76|, |v77|, v48                          // 00000001FD20: D1D30330 04C29B4C
	v_max3_f32 v48, |v78|, |v79|, v48                          // 00000001FD28: D1D30330 04C29F4E
	s_nop 2                                                    // 00000001FD30: BF800002
	v_rcp_f32_e32 v48, v48                                     // 00000001FD34: 7E604530
	s_nop 1                                                    // 00000001FD38: BF800001
	v_mul_f32_e32 v48, 0x43e00000, v48                         // 00000001FD3C: 0A6060FF 43E00000
	v_mul_f32_e32 v160, v48, v240                              // 00000001FD44: 0B41E130
	v_mul_f32_e32 v161, v48, v241                              // 00000001FD48: 0B43E330
	v_mul_f32_e32 v162, v48, v242                              // 00000001FD4C: 0B45E530
	v_mul_f32_e32 v163, v48, v243                              // 00000001FD50: 0B47E730
	v_mul_f32_e32 v164, v48, v244                              // 00000001FD54: 0B49E930
	v_mul_f32_e32 v165, v48, v245                              // 00000001FD58: 0B4BEB30
	v_mul_f32_e32 v166, v48, v246                              // 00000001FD5C: 0B4DED30
	v_mul_f32_e32 v167, v48, v247                              // 00000001FD60: 0B4FEF30
	v_mul_f32_e32 v168, v48, v248                              // 00000001FD64: 0B51F130
	v_mul_f32_e32 v169, v48, v249                              // 00000001FD68: 0B53F330
	v_mul_f32_e32 v170, v48, v250                              // 00000001FD6C: 0B55F530
	v_mul_f32_e32 v171, v48, v251                              // 00000001FD70: 0B57F730
	v_mul_f32_e32 v172, v48, v252                              // 00000001FD74: 0B59F930
	v_mul_f32_e32 v173, v48, v253                              // 00000001FD78: 0B5BFB30
	v_mul_f32_e32 v174, v48, v254                              // 00000001FD7C: 0B5DFD30
	v_mul_f32_e32 v175, v48, v255                              // 00000001FD80: 0B5FFF30
	v_cvt_pk_fp8_f32 v160, v160, v161                          // 00000001FD84: D2A200A0 000343A0
	v_cvt_pk_fp8_f32 v160, v162, v163 op_sel:[0,0,1]           // 00000001FD8C: D2A240A0 000347A2
	v_cvt_pk_fp8_f32 v161, v164, v165                          // 00000001FD94: D2A200A1 00034BA4
	v_cvt_pk_fp8_f32 v161, v166, v167 op_sel:[0,0,1]           // 00000001FD9C: D2A240A1 00034FA6
	v_cvt_pk_fp8_f32 v162, v168, v169                          // 00000001FDA4: D2A200A2 000353A8
	v_cvt_pk_fp8_f32 v162, v170, v171 op_sel:[0,0,1]           // 00000001FDAC: D2A240A2 000357AA
	v_cvt_pk_fp8_f32 v163, v172, v173                          // 00000001FDB4: D2A200A3 00035BAC
	v_cvt_pk_fp8_f32 v163, v174, v175 op_sel:[0,0,1]           // 00000001FDBC: D2A240A3 00035FAE
	ds_write_b32 v10, v160 offset:37376                        // 00000001FDC4: D81A9200 0000A00A
	ds_write_b32 v10, v161 offset:38400                        // 00000001FDCC: D81A9600 0000A10A
	ds_write_b32 v10, v162 offset:39424                        // 00000001FDD4: D81A9A00 0000A20A
	ds_write_b32 v10, v163 offset:40448                        // 00000001FDDC: D81A9E00 0000A30A
	v_add_f32_e32 v232, v232, v200                             // 00000001FDE4: 03D191E8
	v_add_f32_e32 v233, v233, v201                             // 00000001FDE8: 03D393E9
	v_add_f32_e32 v234, v234, v202                             // 00000001FDEC: 03D595EA
	v_add_f32_e32 v235, v235, v203                             // 00000001FDF0: 03D797EB
	v_add_f32_e32 v236, v236, v204                             // 00000001FDF4: 03D999EC
	v_add_f32_e32 v237, v237, v205                             // 00000001FDF8: 03DB9BED
	v_add_f32_e32 v238, v238, v206                             // 00000001FDFC: 03DD9DEE
	v_add_f32_e32 v239, v239, v207                             // 00000001FE00: 03DF9FEF
	v_rcp_f32_e32 v47, v48                                     // 00000001FE04: 7E5E4530
	s_waitcnt lgkmcnt(0)                                       // 00000001FE08: BF8CC07F
	s_barrier                                                  // 00000001FE0C: BF8A0000
	ds_read_b64 v[160:161], v9 offset:37376                    // 00000001FE10: D8EC9200 A0000009
	ds_read_b64 v[162:163], v9 offset:37504                    // 00000001FE18: D8EC9280 A2000009
	ds_read_b64 v[164:165], v9 offset:38400                    // 00000001FE20: D8EC9600 A4000009
	ds_read_b64 v[166:167], v9 offset:38528                    // 00000001FE28: D8EC9680 A6000009
	ds_read_b64 v[168:169], v9 offset:39424                    // 00000001FE30: D8EC9A00 A8000009
	ds_read_b64 v[170:171], v9 offset:39552                    // 00000001FE38: D8EC9A80 AA000009
	ds_read_b64 v[172:173], v9 offset:40448                    // 00000001FE40: D8EC9E00 AC000009
	ds_read_b64 v[174:175], v9 offset:40576                    // 00000001FE48: D8EC9E80 AE000009
	s_waitcnt vmcnt(15)                                        // 00000001FE50: BF8C0F7F
	v_mfma_f32_16x16x32_fp8_fp8 v[176:179], a[64:65], v[112:113], 0// 00000001FE54: D3F300B0 0A02E140
	buffer_load_dwordx4 a[112:115], v34, s[20:23], 0 offen offset:1024// 00000001FE5C: E05C1400 80857022
	v_mfma_f32_16x16x32_fp8_fp8 v[176:179], a[66:67], v[114:115], v[176:179]// 00000001FE64: D3F300B0 0EC2E542
	v_mfma_f32_16x16x32_fp8_fp8 v[176:179], a[68:69], v[116:117], v[176:179]// 00000001FE6C: D3F300B0 0EC2E944
	v_mfma_f32_16x16x32_fp8_fp8 v[176:179], a[70:71], v[118:119], v[176:179]// 00000001FE74: D3F300B0 0EC2ED46
	v_mfma_f32_16x16x32_fp8_fp8 v[176:179], a[72:73], v[120:121], v[176:179]// 00000001FE7C: D3F300B0 0EC2F148
	buffer_load_dwordx4 a[116:119], v35, s[20:23], 0 offen offset:1024// 00000001FE84: E05C1400 80857423
	v_mfma_f32_16x16x32_fp8_fp8 v[176:179], a[74:75], v[122:123], v[176:179]// 00000001FE8C: D3F300B0 0EC2F54A
	v_mfma_f32_16x16x32_fp8_fp8 v[176:179], a[76:77], v[124:125], v[176:179]// 00000001FE94: D3F300B0 0EC2F94C
	v_mfma_f32_16x16x32_fp8_fp8 v[176:179], a[78:79], v[126:127], v[176:179]// 00000001FE9C: D3F300B0 0EC2FD4E
	v_mfma_f32_16x16x32_fp8_fp8 v[180:183], a[80:81], v[112:113], 0// 00000001FEA4: D3F300B4 0A02E150
	buffer_load_dwordx4 a[120:123], v36, s[20:23], 0 offen offset:1024// 00000001FEAC: E05C1400 80857824
	v_mfma_f32_16x16x32_fp8_fp8 v[180:183], a[82:83], v[114:115], v[180:183]// 00000001FEB4: D3F300B4 0ED2E552
	v_mfma_f32_16x16x32_fp8_fp8 v[180:183], a[84:85], v[116:117], v[180:183]// 00000001FEBC: D3F300B4 0ED2E954
	v_mfma_f32_16x16x32_fp8_fp8 v[180:183], a[86:87], v[118:119], v[180:183]// 00000001FEC4: D3F300B4 0ED2ED56
	v_mfma_f32_16x16x32_fp8_fp8 v[180:183], a[88:89], v[120:121], v[180:183]// 00000001FECC: D3F300B4 0ED2F158
	buffer_load_dwordx4 a[124:127], v37, s[20:23], 0 offen offset:1024// 00000001FED4: E05C1400 80857C25
	v_mfma_f32_16x16x32_fp8_fp8 v[180:183], a[90:91], v[122:123], v[180:183]// 00000001FEDC: D3F300B4 0ED2F55A
	v_mfma_f32_16x16x32_fp8_fp8 v[180:183], a[92:93], v[124:125], v[180:183]// 00000001FEE4: D3F300B4 0ED2F95C
	s_lshr_b32 s57, s70, 4                                     // 00000001FEEC: 8F398446
	s_add_u32 s57, 48, s57                                     // 00000001FEF0: 803939B0
	v_mfma_f32_16x16x32_fp8_fp8 v[180:183], a[94:95], v[126:127], v[180:183]// 00000001FEF4: D3F300B4 0ED2FD5E
	s_cmp_ge_u32 s57, s73                                      // 00000001FEFC: BF094939
	s_cselect_b32 s56, 0, s56                                  // 00000001FF00: 85383880
	v_mfma_f32_16x16x32_fp8_fp8 v[184:187], a[64:65], v[128:129], 0// 00000001FF04: D3F300B8 0A030140
	v_mfma_f32_16x16x32_fp8_fp8 v[184:187], a[66:67], v[130:131], v[184:187]// 00000001FF0C: D3F300B8 0EE30542
	v_mfma_f32_16x16x32_fp8_fp8 v[184:187], a[68:69], v[132:133], v[184:187]// 00000001FF14: D3F300B8 0EE30944
	v_mfma_f32_16x16x32_fp8_fp8 v[184:187], a[70:71], v[134:135], v[184:187]// 00000001FF1C: D3F300B8 0EE30D46
	v_mfma_f32_16x16x32_fp8_fp8 v[184:187], a[72:73], v[136:137], v[184:187]// 00000001FF24: D3F300B8 0EE31148
	v_mfma_f32_16x16x32_fp8_fp8 v[184:187], a[74:75], v[138:139], v[184:187]// 00000001FF2C: D3F300B8 0EE3154A
	v_mfma_f32_16x16x32_fp8_fp8 v[184:187], a[76:77], v[140:141], v[184:187]// 00000001FF34: D3F300B8 0EE3194C
	v_mfma_f32_16x16x32_fp8_fp8 v[184:187], a[78:79], v[142:143], v[184:187]// 00000001FF3C: D3F300B8 0EE31D4E
	v_mfma_f32_16x16x32_fp8_fp8 v[188:191], a[80:81], v[128:129], 0// 00000001FF44: D3F300BC 0A030150
	v_mfma_f32_16x16x32_fp8_fp8 v[188:191], a[82:83], v[130:131], v[188:191]// 00000001FF4C: D3F300BC 0EF30552
	v_mfma_f32_16x16x32_fp8_fp8 v[188:191], a[84:85], v[132:133], v[188:191]// 00000001FF54: D3F300BC 0EF30954
	v_mfma_f32_16x16x32_fp8_fp8 v[188:191], a[86:87], v[134:135], v[188:191]// 00000001FF5C: D3F300BC 0EF30D56
	v_mfma_f32_16x16x32_fp8_fp8 v[188:191], a[88:89], v[136:137], v[188:191]// 00000001FF64: D3F300BC 0EF31158
	v_mfma_f32_16x16x32_fp8_fp8 v[188:191], a[90:91], v[138:139], v[188:191]// 00000001FF6C: D3F300BC 0EF3155A
	v_mfma_f32_16x16x32_fp8_fp8 v[188:191], a[92:93], v[140:141], v[188:191]// 00000001FF74: D3F300BC 0EF3195C
	v_mfma_f32_16x16x32_fp8_fp8 v[188:191], a[94:95], v[142:143], v[188:191]// 00000001FF7C: D3F300BC 0EF31D5E
	v_mfma_f32_16x16x32_fp8_fp8 v[192:195], a[64:65], v[144:145], 0// 00000001FF84: D3F300C0 0A032140
	v_mfma_f32_16x16x32_fp8_fp8 v[192:195], a[66:67], v[146:147], v[192:195]// 00000001FF8C: D3F300C0 0F032542
	v_mfma_f32_16x16x32_fp8_fp8 v[192:195], a[68:69], v[148:149], v[192:195]// 00000001FF94: D3F300C0 0F032944
	v_mfma_f32_16x16x32_fp8_fp8 v[192:195], a[70:71], v[150:151], v[192:195]// 00000001FF9C: D3F300C0 0F032D46
	v_mfma_f32_16x16x32_fp8_fp8 v[192:195], a[72:73], v[152:153], v[192:195]// 00000001FFA4: D3F300C0 0F033148
	v_mfma_f32_16x16x32_fp8_fp8 v[192:195], a[74:75], v[154:155], v[192:195]// 00000001FFAC: D3F300C0 0F03354A
	v_mfma_f32_16x16x32_fp8_fp8 v[192:195], a[76:77], v[156:157], v[192:195]// 00000001FFB4: D3F300C0 0F03394C
	v_mfma_f32_16x16x32_fp8_fp8 v[192:195], a[78:79], v[158:159], v[192:195]// 00000001FFBC: D3F300C0 0F033D4E
	v_mfma_f32_16x16x32_fp8_fp8 v[196:199], a[80:81], v[144:145], 0// 00000001FFC4: D3F300C4 0A032150
	v_mfma_f32_16x16x32_fp8_fp8 v[196:199], a[82:83], v[146:147], v[196:199]// 00000001FFCC: D3F300C4 0F132552
	v_mfma_f32_16x16x32_fp8_fp8 v[196:199], a[84:85], v[148:149], v[196:199]// 00000001FFD4: D3F300C4 0F132954
	v_mfma_f32_16x16x32_fp8_fp8 v[196:199], a[86:87], v[150:151], v[196:199]// 00000001FFDC: D3F300C4 0F132D56
	v_mfma_f32_16x16x32_fp8_fp8 v[196:199], a[88:89], v[152:153], v[196:199]// 00000001FFE4: D3F300C4 0F133158
	v_mfma_f32_16x16x32_fp8_fp8 v[196:199], a[90:91], v[154:155], v[196:199]// 00000001FFEC: D3F300C4 0F13355A
	v_mfma_f32_16x16x32_fp8_fp8 v[196:199], a[92:93], v[156:157], v[196:199]// 00000001FFF4: D3F300C4 0F13395C
	v_mfma_f32_16x16x32_fp8_fp8 v[196:199], a[94:95], v[158:159], v[196:199]// 00000001FFFC: D3F300C4 0F133D5E
	v_mfma_f32_16x16x32_fp8_fp8 v[200:203], a[64:65], v[160:161], 0// 000000020004: D3F300C8 0A034140
	v_mfma_f32_16x16x32_fp8_fp8 v[200:203], a[66:67], v[162:163], v[200:203]// 00000002000C: D3F300C8 0F234542
	v_mfma_f32_16x16x32_fp8_fp8 v[200:203], a[68:69], v[164:165], v[200:203]// 000000020014: D3F300C8 0F234944
	v_mfma_f32_16x16x32_fp8_fp8 v[200:203], a[70:71], v[166:167], v[200:203]// 00000002001C: D3F300C8 0F234D46
	v_mfma_f32_16x16x32_fp8_fp8 v[200:203], a[72:73], v[168:169], v[200:203]// 000000020024: D3F300C8 0F235148
	v_mfma_f32_16x16x32_fp8_fp8 v[200:203], a[74:75], v[170:171], v[200:203]// 00000002002C: D3F300C8 0F23554A
	v_mfma_f32_16x16x32_fp8_fp8 v[200:203], a[76:77], v[172:173], v[200:203]// 000000020034: D3F300C8 0F23594C
	v_mfma_f32_16x16x32_fp8_fp8 v[200:203], a[78:79], v[174:175], v[200:203]// 00000002003C: D3F300C8 0F235D4E
	v_mfma_f32_16x16x32_fp8_fp8 v[204:207], a[80:81], v[160:161], 0// 000000020044: D3F300CC 0A034150
	v_mfma_f32_16x16x32_fp8_fp8 v[204:207], a[82:83], v[162:163], v[204:207]// 00000002004C: D3F300CC 0F334552
	v_mfma_f32_16x16x32_fp8_fp8 v[204:207], a[84:85], v[164:165], v[204:207]// 000000020054: D3F300CC 0F334954
	v_mfma_f32_16x16x32_fp8_fp8 v[204:207], a[86:87], v[166:167], v[204:207]// 00000002005C: D3F300CC 0F334D56
	v_mfma_f32_16x16x32_fp8_fp8 v[204:207], a[88:89], v[168:169], v[204:207]// 000000020064: D3F300CC 0F335158
	v_mfma_f32_16x16x32_fp8_fp8 v[204:207], a[90:91], v[170:171], v[204:207]// 00000002006C: D3F300CC 0F33555A
	v_mfma_f32_16x16x32_fp8_fp8 v[204:207], a[92:93], v[172:173], v[204:207]// 000000020074: D3F300CC 0F33595C
	v_mfma_f32_16x16x32_fp8_fp8 v[204:207], a[94:95], v[174:175], v[204:207]// 00000002007C: D3F300CC 0F335D5E
	v_add_u32_e32 v1, s56, v1                                  // 000000020084: 68020238
	s_addk_i32 s70, 0x100                                      // 000000020088: B7460100
	s_cmp_lt_i32 s70, s71                                      // 00000002008C: BF044746
	s_cbranch_scc0 label_6F74                                  // 000000020090: BF84F7CF
	s_waitcnt vmcnt(8) lgkmcnt(0)                              // 000000020094: BF8C0078
	v_mul_u32_u24_dpp v64, v16, v54 row_newbcast:0 row_mask:0xf bank_mask:0xf// 000000020098: 10806CFA FF015010
	v_mul_u32_u24_dpp v65, v16, v54 row_newbcast:4 row_mask:0xf bank_mask:0xf// 0000000200A0: 10826CFA FF015410
	v_mul_u32_u24_dpp v66, v16, v54 row_newbcast:8 row_mask:0xf bank_mask:0xf// 0000000200A8: 10846CFA FF015810
	v_mul_u32_u24_dpp v67, v16, v54 row_newbcast:12 row_mask:0xf bank_mask:0xf// 0000000200B0: 10866CFA FF015C10
	v_add_u32_e32 v22, v64, v5                                 // 0000000200B8: 682C0B40
	v_add_u32_e32 v23, v65, v5                                 // 0000000200BC: 682E0B41
	v_add_u32_e32 v24, v66, v5                                 // 0000000200C0: 68300B42
	v_add_u32_e32 v25, v67, v5                                 // 0000000200C4: 68320B43
	v_mul_u32_u24_dpp v64, v16, v63 quad_perm:[0,0,0,0] row_mask:0xf bank_mask:0xf// 0000000200C8: 10807EFA FF000010
	v_add_u32_e32 v2, v64, v59                                 // 0000000200D0: 68047740
	v_mul_u32_u24_dpp v64, v16, v63 quad_perm:[0,0,0,0] row_mask:0xf bank_mask:0xf// 0000000200D4: 10807EFA FF000010
	v_add_u32_e32 v55, v64, v60                                // 0000000200DC: 686E7940
	v_mfma_f32_16x16x32_fp8_fp8 v[112:115], a[32:33], v[80:81], 0// 0000000200E0: D3F30070 0A02A120
	buffer_load_dwordx4 a[0:3], v22, s[16:19], 0 offen         // 0000000200E8: E05C1000 80840016
	v_mfma_f32_16x16x32_fp8_fp8 v[112:115], a[34:35], v[82:83], v[112:115]// 0000000200F0: D3F30070 0DC2A522
	v_mfma_f32_16x16x32_fp8_fp8 v[112:115], a[36:37], v[84:85], v[112:115]// 0000000200F8: D3F30070 0DC2A924
	buffer_load_dword v17, v1, s[24:27], 0 offen               // 000000020100: E0501000 80061101
	v_mfma_f32_16x16x32_fp8_fp8 v[112:115], a[38:39], v[86:87], v[112:115]// 000000020108: D3F30070 0DC2AD26
	v_mfma_f32_16x16x32_fp8_fp8 v[116:119], a[40:41], v[80:81], 0// 000000020110: D3F30074 0A02A128
	buffer_load_dwordx4 a[4:7], v22, s[16:19], 0 offen offset:1024// 000000020118: E05C1400 80840416
	v_mfma_f32_16x16x32_fp8_fp8 v[116:119], a[42:43], v[82:83], v[116:119]// 000000020120: D3F30074 0DD2A52A
	v_mfma_f32_16x16x32_fp8_fp8 v[116:119], a[44:45], v[84:85], v[116:119]// 000000020128: D3F30074 0DD2A92C
	v_mfma_f32_16x16x32_fp8_fp8 v[116:119], a[46:47], v[86:87], v[116:119]// 000000020130: D3F30074 0DD2AD2E
	v_mfma_f32_16x16x32_fp8_fp8 v[120:123], a[48:49], v[80:81], 0// 000000020138: D3F30078 0A02A130
	buffer_load_dwordx4 a[8:11], v23, s[16:19], 0 offen        // 000000020140: E05C1000 80840817
	v_mfma_f32_16x16x32_fp8_fp8 v[120:123], a[50:51], v[82:83], v[120:123]// 000000020148: D3F30078 0DE2A532
	v_mfma_f32_16x16x32_fp8_fp8 v[120:123], a[52:53], v[84:85], v[120:123]// 000000020150: D3F30078 0DE2A934
	v_mfma_f32_16x16x32_fp8_fp8 v[120:123], a[54:55], v[86:87], v[120:123]// 000000020158: D3F30078 0DE2AD36
	v_mfma_f32_16x16x32_fp8_fp8 v[124:127], a[56:57], v[80:81], 0// 000000020160: D3F3007C 0A02A138
	buffer_load_dwordx4 a[12:15], v23, s[16:19], 0 offen offset:1024// 000000020168: E05C1400 80840C17
	v_mfma_f32_16x16x32_fp8_fp8 v[124:127], a[58:59], v[82:83], v[124:127]// 000000020170: D3F3007C 0DF2A53A
	v_mfma_f32_16x16x32_fp8_fp8 v[124:127], a[60:61], v[84:85], v[124:127]// 000000020178: D3F3007C 0DF2A93C
	v_mfma_f32_16x16x32_fp8_fp8 v[124:127], a[62:63], v[86:87], v[124:127]// 000000020180: D3F3007C 0DF2AD3E
	v_mfma_f32_16x16x32_fp8_fp8 v[128:131], a[32:33], v[88:89], 0// 000000020188: D3F30080 0A02B120
	v_mfma_f32_16x16x32_fp8_fp8 v[128:131], a[34:35], v[90:91], v[128:131]// 000000020190: D3F30080 0E02B522
	v_mfma_f32_16x16x32_fp8_fp8 v[128:131], a[36:37], v[92:93], v[128:131]// 000000020198: D3F30080 0E02B924
	v_mfma_f32_16x16x32_fp8_fp8 v[128:131], a[38:39], v[94:95], v[128:131]// 0000000201A0: D3F30080 0E02BD26
	v_mfma_f32_16x16x32_fp8_fp8 v[132:135], a[40:41], v[88:89], 0// 0000000201A8: D3F30084 0A02B128
	v_mfma_f32_16x16x32_fp8_fp8 v[132:135], a[42:43], v[90:91], v[132:135]// 0000000201B0: D3F30084 0E12B52A
	v_mfma_f32_16x16x32_fp8_fp8 v[132:135], a[44:45], v[92:93], v[132:135]// 0000000201B8: D3F30084 0E12B92C
	v_mfma_f32_16x16x32_fp8_fp8 v[132:135], a[46:47], v[94:95], v[132:135]// 0000000201C0: D3F30084 0E12BD2E
	v_mfma_f32_16x16x32_fp8_fp8 v[136:139], a[48:49], v[88:89], 0// 0000000201C8: D3F30088 0A02B130
	v_mfma_f32_16x16x32_fp8_fp8 v[136:139], a[50:51], v[90:91], v[136:139]// 0000000201D0: D3F30088 0E22B532
	v_mfma_f32_16x16x32_fp8_fp8 v[136:139], a[52:53], v[92:93], v[136:139]// 0000000201D8: D3F30088 0E22B934
	v_mfma_f32_16x16x32_fp8_fp8 v[136:139], a[54:55], v[94:95], v[136:139]// 0000000201E0: D3F30088 0E22BD36
	v_mfma_f32_16x16x32_fp8_fp8 v[140:143], a[56:57], v[88:89], 0// 0000000201E8: D3F3008C 0A02B138
	v_mfma_f32_16x16x32_fp8_fp8 v[140:143], a[58:59], v[90:91], v[140:143]// 0000000201F0: D3F3008C 0E32B53A
	v_mfma_f32_16x16x32_fp8_fp8 v[140:143], a[60:61], v[92:93], v[140:143]// 0000000201F8: D3F3008C 0E32B93C
	v_mfma_f32_16x16x32_fp8_fp8 v[140:143], a[62:63], v[94:95], v[140:143]// 000000020200: D3F3008C 0E32BD3E
	v_mfma_f32_16x16x32_fp8_fp8 v[144:147], a[32:33], v[96:97], 0// 000000020208: D3F30090 0A02C120
	v_mfma_f32_16x16x32_fp8_fp8 v[144:147], a[34:35], v[98:99], v[144:147]// 000000020210: D3F30090 0E42C522
	v_mfma_f32_16x16x32_fp8_fp8 v[144:147], a[36:37], v[100:101], v[144:147]// 000000020218: D3F30090 0E42C924
	v_mfma_f32_16x16x32_fp8_fp8 v[144:147], a[38:39], v[102:103], v[144:147]// 000000020220: D3F30090 0E42CD26
	v_mfma_f32_16x16x32_fp8_fp8 v[148:151], a[40:41], v[96:97], 0// 000000020228: D3F30094 0A02C128
	v_mfma_f32_16x16x32_fp8_fp8 v[148:151], a[42:43], v[98:99], v[148:151]// 000000020230: D3F30094 0E52C52A
	v_mfma_f32_16x16x32_fp8_fp8 v[148:151], a[44:45], v[100:101], v[148:151]// 000000020238: D3F30094 0E52C92C
	v_mfma_f32_16x16x32_fp8_fp8 v[148:151], a[46:47], v[102:103], v[148:151]// 000000020240: D3F30094 0E52CD2E
	v_mfma_f32_16x16x32_fp8_fp8 v[152:155], a[48:49], v[96:97], 0// 000000020248: D3F30098 0A02C130
	v_mfma_f32_16x16x32_fp8_fp8 v[152:155], a[50:51], v[98:99], v[152:155]// 000000020250: D3F30098 0E62C532
	v_mfma_f32_16x16x32_fp8_fp8 v[152:155], a[52:53], v[100:101], v[152:155]// 000000020258: D3F30098 0E62C934
	v_mfma_f32_16x16x32_fp8_fp8 v[152:155], a[54:55], v[102:103], v[152:155]// 000000020260: D3F30098 0E62CD36
	v_mfma_f32_16x16x32_fp8_fp8 v[156:159], a[56:57], v[96:97], 0// 000000020268: D3F3009C 0A02C138
	v_mfma_f32_16x16x32_fp8_fp8 v[156:159], a[58:59], v[98:99], v[156:159]// 000000020270: D3F3009C 0E72C53A
	v_mfma_f32_16x16x32_fp8_fp8 v[156:159], a[60:61], v[100:101], v[156:159]// 000000020278: D3F3009C 0E72C93C
	v_mfma_f32_16x16x32_fp8_fp8 v[156:159], a[62:63], v[102:103], v[156:159]// 000000020280: D3F3009C 0E72CD3E
	v_mfma_f32_16x16x32_fp8_fp8 v[160:163], a[32:33], v[104:105], 0// 000000020288: D3F300A0 0A02D120
	v_mfma_f32_16x16x32_fp8_fp8 v[160:163], a[34:35], v[106:107], v[160:163]// 000000020290: D3F300A0 0E82D522
	v_mfma_f32_16x16x32_fp8_fp8 v[160:163], a[36:37], v[108:109], v[160:163]// 000000020298: D3F300A0 0E82D924
	v_mfma_f32_16x16x32_fp8_fp8 v[160:163], a[38:39], v[110:111], v[160:163]// 0000000202A0: D3F300A0 0E82DD26
	v_mfma_f32_16x16x32_fp8_fp8 v[164:167], a[40:41], v[104:105], 0// 0000000202A8: D3F300A4 0A02D128
	v_mfma_f32_16x16x32_fp8_fp8 v[164:167], a[42:43], v[106:107], v[164:167]// 0000000202B0: D3F300A4 0E92D52A
	v_mfma_f32_16x16x32_fp8_fp8 v[164:167], a[44:45], v[108:109], v[164:167]// 0000000202B8: D3F300A4 0E92D92C
	v_mfma_f32_16x16x32_fp8_fp8 v[164:167], a[46:47], v[110:111], v[164:167]// 0000000202C0: D3F300A4 0E92DD2E
	v_mfma_f32_16x16x32_fp8_fp8 v[168:171], a[48:49], v[104:105], 0// 0000000202C8: D3F300A8 0A02D130
	v_mfma_f32_16x16x32_fp8_fp8 v[168:171], a[50:51], v[106:107], v[168:171]// 0000000202D0: D3F300A8 0EA2D532
	v_mfma_f32_16x16x32_fp8_fp8 v[168:171], a[52:53], v[108:109], v[168:171]// 0000000202D8: D3F300A8 0EA2D934
	v_mfma_f32_16x16x32_fp8_fp8 v[168:171], a[54:55], v[110:111], v[168:171]// 0000000202E0: D3F300A8 0EA2DD36
	v_mfma_f32_16x16x32_fp8_fp8 v[172:175], a[56:57], v[104:105], 0// 0000000202E8: D3F300AC 0A02D138
	v_mfma_f32_16x16x32_fp8_fp8 v[172:175], a[58:59], v[106:107], v[172:175]// 0000000202F0: D3F300AC 0EB2D53A
	v_mfma_f32_16x16x32_fp8_fp8 v[172:175], a[60:61], v[108:109], v[172:175]// 0000000202F8: D3F300AC 0EB2D93C
	v_mfma_f32_16x16x32_fp8_fp8 v[172:175], a[62:63], v[110:111], v[172:175]// 000000020300: D3F300AC 0EB2DD3E
	buffer_load_dword v42, v2, s[32:35], 0 offen               // 000000020308: E0501000 80082A02
	v_mov_b32_dpp v64, v43 row_shr:4 row_mask:0xf bank_mask:0xf// 000000020310: 7E8002FA FF01142B
	v_mov_b32_dpp v65, v43 row_shl:4 row_mask:0xf bank_mask:0xf// 000000020318: 7E8202FA FF01042B
	v_cndmask_b32_e64 v248, v43, v64, s[44:45]                 // 000000020320: D10000F8 00B2812B
	v_cndmask_b32_e64 v249, v65, v43, s[44:45]                 // 000000020328: D10000F9 00B25741
	v_mov_b32_dpp v64, v248 row_shr:8 row_mask:0xf bank_mask:0xf// 000000020330: 7E8002FA FF0118F8
	v_mov_b32_dpp v65, v248 row_shl:8 row_mask:0xf bank_mask:0xf// 000000020338: 7E8202FA FF0108F8
	v_mov_b32_dpp v66, v249 row_shr:8 row_mask:0xf bank_mask:0xf// 000000020340: 7E8402FA FF0118F9
	v_mov_b32_dpp v67, v249 row_shl:8 row_mask:0xf bank_mask:0xf// 000000020348: 7E8602FA FF0108F9
	v_mov_b32_e32 v68, v248                                    // 000000020350: 7E8803F8
	v_mov_b32_e32 v69, v249                                    // 000000020354: 7E8A03F9
	v_cndmask_b32_e64 v248, v68, v64, s[42:43]                 // 000000020358: D10000F8 00AA8144
	v_cndmask_b32_e64 v250, v68, v65, s[78:79]                 // 000000020360: D10000FA 013A8344
	v_cndmask_b32_e64 v249, v69, v66, s[42:43]                 // 000000020368: D10000F9 00AA8545
	v_cndmask_b32_e64 v251, v69, v67, s[78:79]                 // 000000020370: D10000FB 013A8745
	v_mov_b32_dpp v64, v58 row_shr:4 row_mask:0xf bank_mask:0xf// 000000020378: 7E8002FA FF01143A
	v_mov_b32_dpp v65, v58 row_shl:4 row_mask:0xf bank_mask:0xf// 000000020380: 7E8202FA FF01043A
	v_cndmask_b32_e64 v252, v58, v64, s[44:45]                 // 000000020388: D10000FC 00B2813A
	v_cndmask_b32_e64 v253, v65, v58, s[44:45]                 // 000000020390: D10000FD 00B27541
	v_mov_b32_dpp v64, v252 row_shr:8 row_mask:0xf bank_mask:0xf// 000000020398: 7E8002FA FF0118FC
	v_mov_b32_dpp v65, v252 row_shl:8 row_mask:0xf bank_mask:0xf// 0000000203A0: 7E8202FA FF0108FC
	v_mov_b32_dpp v66, v253 row_shr:8 row_mask:0xf bank_mask:0xf// 0000000203A8: 7E8402FA FF0118FD
	v_mov_b32_dpp v67, v253 row_shl:8 row_mask:0xf bank_mask:0xf// 0000000203B0: 7E8602FA FF0108FD
	v_mov_b32_e32 v68, v252                                    // 0000000203B8: 7E8803FC
	v_mov_b32_e32 v69, v253                                    // 0000000203BC: 7E8A03FD
	v_cndmask_b32_e64 v252, v68, v64, s[42:43]                 // 0000000203C0: D10000FC 00AA8144
	v_cndmask_b32_e64 v254, v68, v65, s[78:79]                 // 0000000203C8: D10000FE 013A8344
	v_cndmask_b32_e64 v253, v69, v66, s[42:43]                 // 0000000203D0: D10000FD 00AA8545
	v_cndmask_b32_e64 v255, v69, v67, s[78:79]                 // 0000000203D8: D10000FF 013A8745
	buffer_load_dword v57, v55, s[36:39], 0 offen              // 0000000203E0: E0501000 80093937
	v_mul_f32_e32 v112, v18, v112                              // 0000000203E8: 0AE0E112
	v_mul_f32_e32 v113, v18, v113                              // 0000000203EC: 0AE2E312
	v_mul_f32_e32 v114, v18, v114                              // 0000000203F0: 0AE4E512
	v_mul_f32_e32 v115, v18, v115                              // 0000000203F4: 0AE6E712
	v_mul_f32_e32 v116, v18, v116                              // 0000000203F8: 0AE8E912
	v_mul_f32_e32 v117, v18, v117                              // 0000000203FC: 0AEAEB12
	v_mul_f32_e32 v118, v18, v118                              // 000000020400: 0AECED12
	v_mul_f32_e32 v119, v18, v119                              // 000000020404: 0AEEEF12
	v_mul_f32_e32 v120, v18, v120                              // 000000020408: 0AF0F112
	v_mul_f32_e32 v121, v18, v121                              // 00000002040C: 0AF2F312
	v_mul_f32_e32 v122, v18, v122                              // 000000020410: 0AF4F512
	v_mul_f32_e32 v123, v18, v123                              // 000000020414: 0AF6F712
	v_mul_f32_e32 v124, v18, v124                              // 000000020418: 0AF8F912
	v_mul_f32_e32 v125, v18, v125                              // 00000002041C: 0AFAFB12
	v_mul_f32_e32 v126, v18, v126                              // 000000020420: 0AFCFD12
	v_mul_f32_e32 v127, v18, v127                              // 000000020424: 0AFEFF12
	buffer_load_dwordx4 a[16:19], v24, s[16:19], 0 offen       // 000000020428: E05C1000 80841018
	v_mul_f32_dpp v112, v248, v112 quad_perm:[0,0,0,0] row_mask:0xf bank_mask:0xf// 000000020430: 0AE0E0FA FF0000F8
	v_mul_f32_dpp v113, v248, v113 quad_perm:[1,1,1,1] row_mask:0xf bank_mask:0xf// 000000020438: 0AE2E2FA FF0055F8
	v_mul_f32_dpp v114, v248, v114 quad_perm:[2,2,2,2] row_mask:0xf bank_mask:0xf// 000000020440: 0AE4E4FA FF00AAF8
	v_mul_f32_dpp v115, v248, v115 quad_perm:[3,3,3,3] row_mask:0xf bank_mask:0xf// 000000020448: 0AE6E6FA FF00FFF8
	v_mul_f32_dpp v116, v249, v116 quad_perm:[0,0,0,0] row_mask:0xf bank_mask:0xf// 000000020450: 0AE8E8FA FF0000F9
	v_mul_f32_dpp v117, v249, v117 quad_perm:[1,1,1,1] row_mask:0xf bank_mask:0xf// 000000020458: 0AEAEAFA FF0055F9
	v_mul_f32_dpp v118, v249, v118 quad_perm:[2,2,2,2] row_mask:0xf bank_mask:0xf// 000000020460: 0AECECFA FF00AAF9
	v_mul_f32_dpp v119, v249, v119 quad_perm:[3,3,3,3] row_mask:0xf bank_mask:0xf// 000000020468: 0AEEEEFA FF00FFF9
	v_mul_f32_dpp v120, v250, v120 quad_perm:[0,0,0,0] row_mask:0xf bank_mask:0xf// 000000020470: 0AF0F0FA FF0000FA
	v_mul_f32_dpp v121, v250, v121 quad_perm:[1,1,1,1] row_mask:0xf bank_mask:0xf// 000000020478: 0AF2F2FA FF0055FA
	v_mul_f32_dpp v122, v250, v122 quad_perm:[2,2,2,2] row_mask:0xf bank_mask:0xf// 000000020480: 0AF4F4FA FF00AAFA
	v_mul_f32_dpp v123, v250, v123 quad_perm:[3,3,3,3] row_mask:0xf bank_mask:0xf// 000000020488: 0AF6F6FA FF00FFFA
	v_mul_f32_dpp v124, v251, v124 quad_perm:[0,0,0,0] row_mask:0xf bank_mask:0xf// 000000020490: 0AF8F8FA FF0000FB
	v_mul_f32_dpp v125, v251, v125 quad_perm:[1,1,1,1] row_mask:0xf bank_mask:0xf// 000000020498: 0AFAFAFA FF0055FB
	v_mul_f32_dpp v126, v251, v126 quad_perm:[2,2,2,2] row_mask:0xf bank_mask:0xf// 0000000204A0: 0AFCFCFA FF00AAFB
	v_mul_f32_dpp v127, v251, v127 quad_perm:[3,3,3,3] row_mask:0xf bank_mask:0xf// 0000000204A8: 0AFEFEFA FF00FFFB
	buffer_load_dwordx4 a[20:23], v24, s[16:19], 0 offen offset:1024// 0000000204B0: E05C1400 80841418
	v_mov_b32_e32 v48, v112                                    // 0000000204B8: 7E600370
	v_max3_f32 v48, v112, v113, v48                            // 0000000204BC: D1D30030 04C2E370
	v_max3_f32 v48, v114, v115, v48                            // 0000000204C4: D1D30030 04C2E772
	v_max3_f32 v48, v116, v117, v48                            // 0000000204CC: D1D30030 04C2EB74
	v_max3_f32 v48, v118, v119, v48                            // 0000000204D4: D1D30030 04C2EF76
	v_max3_f32 v48, v120, v121, v48                            // 0000000204DC: D1D30030 04C2F378
	v_max3_f32 v48, v122, v123, v48                            // 0000000204E4: D1D30030 04C2F77A
	v_max3_f32 v48, v124, v125, v48                            // 0000000204EC: D1D30030 04C2FB7C
	v_max3_f32 v48, v126, v127, v48                            // 0000000204F4: D1D30030 04C2FF7E
	ds_write_b32 v8, v48 offset:16896                          // 0000000204FC: D81A4200 00003008
	buffer_load_dwordx4 a[24:27], v25, s[16:19], 0 offen       // 000000020504: E05C1000 80841819
	v_mul_u32_u24_dpp v64, v16, v54 row_newbcast:1 row_mask:0xf bank_mask:0xf// 00000002050C: 10806CFA FF015110
	v_mul_u32_u24_dpp v65, v16, v54 row_newbcast:5 row_mask:0xf bank_mask:0xf// 000000020514: 10826CFA FF015510
	v_mul_u32_u24_dpp v66, v16, v54 row_newbcast:9 row_mask:0xf bank_mask:0xf// 00000002051C: 10846CFA FF015910
	v_mul_u32_u24_dpp v67, v16, v54 row_newbcast:13 row_mask:0xf bank_mask:0xf// 000000020524: 10866CFA FF015D10
	v_add_u32_e32 v30, v64, v6                                 // 00000002052C: 683C0D40
	v_add_u32_e32 v31, v65, v6                                 // 000000020530: 683E0D41
	v_add_u32_e32 v32, v66, v6                                 // 000000020534: 68400D42
	v_add_u32_e32 v33, v67, v6                                 // 000000020538: 68420D43
	v_mul_f32_e32 v208, v49, v208                              // 00000002053C: 0BA1A131
	v_mul_f32_e32 v209, v49, v209                              // 000000020540: 0BA3A331
	v_mul_f32_e32 v210, v49, v210                              // 000000020544: 0BA5A531
	v_mul_f32_e32 v211, v49, v211                              // 000000020548: 0BA7A731
	v_mul_f32_e32 v212, v49, v212                              // 00000002054C: 0BA9A931
	v_mul_f32_e32 v213, v49, v213                              // 000000020550: 0BABAB31
	v_mul_f32_e32 v214, v49, v214                              // 000000020554: 0BADAD31
	v_mul_f32_e32 v215, v49, v215                              // 000000020558: 0BAFAF31
	s_waitcnt lgkmcnt(0)                                       // 00000002055C: BF8CC07F
	s_barrier                                                  // 000000020560: BF8A0000
	ds_read_b32 v64, v7 offset:16896                           // 000000020564: D86C4200 40000007
	ds_read_b32 v65, v7 offset:16960                           // 00000002056C: D86C4240 41000007
	ds_read_b32 v66, v7 offset:17024                           // 000000020574: D86C4280 42000007
	ds_read_b32 v67, v7 offset:17088                           // 00000002057C: D86C42C0 43000007
	ds_read_b32 v68, v7 offset:17152                           // 000000020584: D86C4300 44000007
	ds_read_b32 v69, v7 offset:17216                           // 00000002058C: D86C4340 45000007
	ds_read_b32 v70, v7 offset:17280                           // 000000020594: D86C4380 46000007
	ds_read_b32 v71, v7 offset:17344                           // 00000002059C: D86C43C0 47000007
	ds_read_b32 v72, v7 offset:17408                           // 0000000205A4: D86C4400 48000007
	ds_read_b32 v73, v7 offset:17472                           // 0000000205AC: D86C4440 49000007
	ds_read_b32 v74, v7 offset:17536                           // 0000000205B4: D86C4480 4A000007
	ds_read_b32 v75, v7 offset:17600                           // 0000000205BC: D86C44C0 4B000007
	ds_read_b32 v76, v7 offset:17664                           // 0000000205C4: D86C4500 4C000007
	ds_read_b32 v77, v7 offset:17728                           // 0000000205CC: D86C4540 4D000007
	ds_read_b32 v78, v7 offset:17792                           // 0000000205D4: D86C4580 4E000007
	ds_read_b32 v79, v7 offset:17856                           // 0000000205DC: D86C45C0 4F000007
	buffer_load_dwordx4 a[28:31], v25, s[16:19], 0 offen offset:1024// 0000000205E4: E05C1400 80841C19
	v_mul_f32_e32 v176, v44, v176                              // 0000000205EC: 0B61612C
	v_mul_f32_e32 v177, v44, v177                              // 0000000205F0: 0B63632C
	v_mul_f32_e32 v178, v44, v178                              // 0000000205F4: 0B65652C
	v_mul_f32_e32 v179, v44, v179                              // 0000000205F8: 0B67672C
	v_mul_f32_e32 v180, v44, v180                              // 0000000205FC: 0B69692C
	v_mul_f32_e32 v181, v44, v181                              // 000000020600: 0B6B6B2C
	v_mul_f32_e32 v182, v44, v182                              // 000000020604: 0B6D6D2C
	v_mul_f32_e32 v183, v44, v183                              // 000000020608: 0B6F6F2C
	s_waitcnt lgkmcnt(0)                                       // 00000002060C: BF8CC07F
	v_max3_f32 v48, v64, v65, v48                              // 000000020610: D1D30030 04C28340
	v_max3_f32 v48, v66, v67, v48                              // 000000020618: D1D30030 04C28742
	v_max3_f32 v48, v68, v69, v48                              // 000000020620: D1D30030 04C28B44
	v_max3_f32 v48, v70, v71, v48                              // 000000020628: D1D30030 04C28F46
	v_max3_f32 v48, v72, v73, v48                              // 000000020630: D1D30030 04C29348
	v_max3_f32 v48, v74, v75, v48                              // 000000020638: D1D30030 04C2974A
	v_max3_f32 v48, v76, v77, v48                              // 000000020640: D1D30030 04C29B4C
	v_max3_f32 v48, v78, v79, v48                              // 000000020648: D1D30030 04C29F4E
	buffer_load_dwordx4 a[64:67], v30, s[20:23], 0 offen       // 000000020650: E05C1000 8085401E
	v_mov_b32_e32 v64, 0xff800000                              // 000000020658: 7E8002FF FF800000
	v_cmp_eq_u32_e64 s[40:41], v64, v11                        // 000000020660: D0CA0028 00021740
	s_nop 1                                                    // 000000020668: BF800001
	v_max_f32_e32 v15, v48, v11                                // 00000002066C: 161E1730
	v_mul_f32_e32 v53, s64, v15                                // 000000020670: 0A6A1E40
	v_fma_f32 v112, v112, s64, -v53                            // 000000020674: D1CB0070 84D48170
	v_fma_f32 v113, v113, s64, -v53                            // 00000002067C: D1CB0071 84D48171
	v_fma_f32 v114, v114, s64, -v53                            // 000000020684: D1CB0072 84D48172
	v_fma_f32 v115, v115, s64, -v53                            // 00000002068C: D1CB0073 84D48173
	v_fma_f32 v116, v116, s64, -v53                            // 000000020694: D1CB0074 84D48174
	v_fma_f32 v117, v117, s64, -v53                            // 00000002069C: D1CB0075 84D48175
	v_fma_f32 v118, v118, s64, -v53                            // 0000000206A4: D1CB0076 84D48176
	v_fma_f32 v119, v119, s64, -v53                            // 0000000206AC: D1CB0077 84D48177
	v_fma_f32 v120, v120, s64, -v53                            // 0000000206B4: D1CB0078 84D48178
	v_fma_f32 v121, v121, s64, -v53                            // 0000000206BC: D1CB0079 84D48179
	v_fma_f32 v122, v122, s64, -v53                            // 0000000206C4: D1CB007A 84D4817A
	v_fma_f32 v123, v123, s64, -v53                            // 0000000206CC: D1CB007B 84D4817B
	v_fma_f32 v124, v124, s64, -v53                            // 0000000206D4: D1CB007C 84D4817C
	v_fma_f32 v125, v125, s64, -v53                            // 0000000206DC: D1CB007D 84D4817D
	v_fma_f32 v126, v126, s64, -v53                            // 0000000206E4: D1CB007E 84D4817E
	v_fma_f32 v127, v127, s64, -v53                            // 0000000206EC: D1CB007F 84D4817F
	buffer_load_dwordx4 a[68:71], v31, s[20:23], 0 offen       // 0000000206F4: E05C1000 8085441F
	v_exp_f32_e32 v112, v112                                   // 0000000206FC: 7EE04170
	v_exp_f32_e32 v113, v113                                   // 000000020700: 7EE24171
	v_exp_f32_e32 v114, v114                                   // 000000020704: 7EE44172
	v_exp_f32_e32 v115, v115                                   // 000000020708: 7EE64173
	v_exp_f32_e32 v116, v116                                   // 00000002070C: 7EE84174
	v_exp_f32_e32 v117, v117                                   // 000000020710: 7EEA4175
	v_exp_f32_e32 v118, v118                                   // 000000020714: 7EEC4176
	v_exp_f32_e32 v119, v119                                   // 000000020718: 7EEE4177
	v_exp_f32_e32 v120, v120                                   // 00000002071C: 7EF04178
	v_exp_f32_e32 v121, v121                                   // 000000020720: 7EF24179
	v_exp_f32_e32 v122, v122                                   // 000000020724: 7EF4417A
	v_exp_f32_e32 v123, v123                                   // 000000020728: 7EF6417B
	v_exp_f32_e32 v124, v124                                   // 00000002072C: 7EF8417C
	v_exp_f32_e32 v125, v125                                   // 000000020730: 7EFA417D
	v_exp_f32_e32 v126, v126                                   // 000000020734: 7EFC417E
	v_exp_f32_e32 v127, v127                                   // 000000020738: 7EFE417F
	buffer_load_dwordx4 a[72:75], v32, s[20:23], 0 offen       // 00000002073C: E05C1000 80854820
	v_mul_f32_dpp v240, v252, v112 quad_perm:[0,0,0,0] row_mask:0xf bank_mask:0xf// 000000020744: 0BE0E0FA FF0000FC
	v_mul_f32_dpp v241, v252, v113 quad_perm:[1,1,1,1] row_mask:0xf bank_mask:0xf// 00000002074C: 0BE2E2FA FF0055FC
	v_mul_f32_dpp v242, v252, v114 quad_perm:[2,2,2,2] row_mask:0xf bank_mask:0xf// 000000020754: 0BE4E4FA FF00AAFC
	v_mul_f32_dpp v243, v252, v115 quad_perm:[3,3,3,3] row_mask:0xf bank_mask:0xf// 00000002075C: 0BE6E6FA FF00FFFC
	v_mul_f32_dpp v244, v253, v116 quad_perm:[0,0,0,0] row_mask:0xf bank_mask:0xf// 000000020764: 0BE8E8FA FF0000FD
	v_mul_f32_dpp v245, v253, v117 quad_perm:[1,1,1,1] row_mask:0xf bank_mask:0xf// 00000002076C: 0BEAEAFA FF0055FD
	v_mul_f32_dpp v246, v253, v118 quad_perm:[2,2,2,2] row_mask:0xf bank_mask:0xf// 000000020774: 0BECECFA FF00AAFD
	v_mul_f32_dpp v247, v253, v119 quad_perm:[3,3,3,3] row_mask:0xf bank_mask:0xf// 00000002077C: 0BEEEEFA FF00FFFD
	v_mul_f32_dpp v248, v254, v120 quad_perm:[0,0,0,0] row_mask:0xf bank_mask:0xf// 000000020784: 0BF0F0FA FF0000FE
	v_mul_f32_dpp v249, v254, v121 quad_perm:[1,1,1,1] row_mask:0xf bank_mask:0xf// 00000002078C: 0BF2F2FA FF0055FE
	v_mul_f32_dpp v250, v254, v122 quad_perm:[2,2,2,2] row_mask:0xf bank_mask:0xf// 000000020794: 0BF4F4FA FF00AAFE
	v_mul_f32_dpp v251, v254, v123 quad_perm:[3,3,3,3] row_mask:0xf bank_mask:0xf// 00000002079C: 0BF6F6FA FF00FFFE
	v_mul_f32_dpp v252, v255, v124 quad_perm:[0,0,0,0] row_mask:0xf bank_mask:0xf// 0000000207A4: 0BF8F8FA FF0000FF
	v_mul_f32_dpp v253, v255, v125 quad_perm:[1,1,1,1] row_mask:0xf bank_mask:0xf// 0000000207AC: 0BFAFAFA FF0055FF
	v_mul_f32_dpp v254, v255, v126 quad_perm:[2,2,2,2] row_mask:0xf bank_mask:0xf// 0000000207B4: 0BFCFCFA FF00AAFF
	v_mul_f32_dpp v255, v255, v127 quad_perm:[3,3,3,3] row_mask:0xf bank_mask:0xf// 0000000207BC: 0BFEFEFA FF00FFFF
	v_mov_b32_e32 v48, 0x358637bd                              // 0000000207C4: 7E6002FF 358637BD
	v_max3_f32 v48, |v240|, |v241|, v48                        // 0000000207CC: D1D30330 04C3E3F0
	v_max3_f32 v48, |v242|, |v243|, v48                        // 0000000207D4: D1D30330 04C3E7F2
	v_max3_f32 v48, |v244|, |v245|, v48                        // 0000000207DC: D1D30330 04C3EBF4
	v_max3_f32 v48, |v246|, |v247|, v48                        // 0000000207E4: D1D30330 04C3EFF6
	v_max3_f32 v48, |v248|, |v249|, v48                        // 0000000207EC: D1D30330 04C3F3F8
	v_max3_f32 v48, |v250|, |v251|, v48                        // 0000000207F4: D1D30330 04C3F7FA
	v_max3_f32 v48, |v252|, |v253|, v48                        // 0000000207FC: D1D30330 04C3FBFC
	v_max3_f32 v48, |v254|, |v255|, v48                        // 000000020804: D1D30330 04C3FFFE
	buffer_load_dwordx4 a[76:79], v33, s[20:23], 0 offen       // 00000002080C: E05C1000 80854C21
	ds_write_b32 v8, v48 offset:20992                          // 000000020814: D81A5200 00003008
	v_sub_f32_e32 v49, v11, v15                                // 00000002081C: 04621F0B
	v_cndmask_b32_e64 v49, v49, 0, s[40:41]                    // 000000020820: D1000031 00A10131
	v_mov_b32_e32 v11, v15                                     // 000000020828: 7E16030F
	v_mul_f32_e32 v49, s64, v49                                // 00000002082C: 0A626240
	v_exp_f32_e32 v49, v49                                     // 000000020830: 7E624131
	s_waitcnt lgkmcnt(0)                                       // 000000020834: BF8CC07F
	s_barrier                                                  // 000000020838: BF8A0000
	ds_read_b32 v64, v7 offset:20992                           // 00000002083C: D86C5200 40000007
	ds_read_b32 v65, v7 offset:21056                           // 000000020844: D86C5240 41000007
	ds_read_b32 v66, v7 offset:21120                           // 00000002084C: D86C5280 42000007
	ds_read_b32 v67, v7 offset:21184                           // 000000020854: D86C52C0 43000007
	ds_read_b32 v68, v7 offset:21248                           // 00000002085C: D86C5300 44000007
	ds_read_b32 v69, v7 offset:21312                           // 000000020864: D86C5340 45000007
	ds_read_b32 v70, v7 offset:21376                           // 00000002086C: D86C5380 46000007
	ds_read_b32 v71, v7 offset:21440                           // 000000020874: D86C53C0 47000007
	ds_read_b32 v72, v7 offset:21504                           // 00000002087C: D86C5400 48000007
	ds_read_b32 v73, v7 offset:21568                           // 000000020884: D86C5440 49000007
	ds_read_b32 v74, v7 offset:21632                           // 00000002088C: D86C5480 4A000007
	ds_read_b32 v75, v7 offset:21696                           // 000000020894: D86C54C0 4B000007
	ds_read_b32 v76, v7 offset:21760                           // 00000002089C: D86C5500 4C000007
	ds_read_b32 v77, v7 offset:21824                           // 0000000208A4: D86C5540 4D000007
	ds_read_b32 v78, v7 offset:21888                           // 0000000208AC: D86C5580 4E000007
	ds_read_b32 v79, v7 offset:21952                           // 0000000208B4: D86C55C0 4F000007
	v_mul_f32_e32 v38, v49, v38                                // 0000000208BC: 0A4C4D31
	v_mov_b32_e32 v15, v112                                    // 0000000208C0: 7E1E0370
	v_add_f32_e32 v15, v113, v15                               // 0000000208C4: 021E1F71
	v_add_f32_e32 v15, v114, v15                               // 0000000208C8: 021E1F72
	v_add_f32_e32 v15, v115, v15                               // 0000000208CC: 021E1F73
	v_add_f32_e32 v15, v116, v15                               // 0000000208D0: 021E1F74
	v_add_f32_e32 v15, v117, v15                               // 0000000208D4: 021E1F75
	v_add_f32_e32 v15, v118, v15                               // 0000000208D8: 021E1F76
	v_add_f32_e32 v15, v119, v15                               // 0000000208DC: 021E1F77
	v_add_f32_e32 v15, v120, v15                               // 0000000208E0: 021E1F78
	v_add_f32_e32 v15, v121, v15                               // 0000000208E4: 021E1F79
	v_add_f32_e32 v15, v122, v15                               // 0000000208E8: 021E1F7A
	v_add_f32_e32 v15, v123, v15                               // 0000000208EC: 021E1F7B
	v_add_f32_e32 v15, v124, v15                               // 0000000208F0: 021E1F7C
	v_add_f32_e32 v15, v125, v15                               // 0000000208F4: 021E1F7D
	v_add_f32_e32 v15, v126, v15                               // 0000000208F8: 021E1F7E
	v_add_f32_e32 v15, v127, v15                               // 0000000208FC: 021E1F7F
	v_add_f32_e32 v38, v15, v38                                // 000000020900: 024C4D0F
	s_waitcnt lgkmcnt(0)                                       // 000000020904: BF8CC07F
	v_max3_f32 v48, |v64|, |v65|, v48                          // 000000020908: D1D30330 04C28340
	v_max3_f32 v48, |v66|, |v67|, v48                          // 000000020910: D1D30330 04C28742
	v_max3_f32 v48, |v68|, |v69|, v48                          // 000000020918: D1D30330 04C28B44
	v_max3_f32 v48, |v70|, |v71|, v48                          // 000000020920: D1D30330 04C28F46
	v_max3_f32 v48, |v72|, |v73|, v48                          // 000000020928: D1D30330 04C29348
	v_max3_f32 v48, |v74|, |v75|, v48                          // 000000020930: D1D30330 04C2974A
	v_max3_f32 v48, |v76|, |v77|, v48                          // 000000020938: D1D30330 04C29B4C
	v_max3_f32 v48, |v78|, |v79|, v48                          // 000000020940: D1D30330 04C29F4E
	s_nop 2                                                    // 000000020948: BF800002
	v_rcp_f32_e32 v48, v48                                     // 00000002094C: 7E604530
	s_nop 1                                                    // 000000020950: BF800001
	v_mul_f32_e32 v48, 0x43e00000, v48                         // 000000020954: 0A6060FF 43E00000
	v_mul_f32_e32 v112, v48, v240                              // 00000002095C: 0AE1E130
	v_mul_f32_e32 v113, v48, v241                              // 000000020960: 0AE3E330
	v_mul_f32_e32 v114, v48, v242                              // 000000020964: 0AE5E530
	v_mul_f32_e32 v115, v48, v243                              // 000000020968: 0AE7E730
	v_mul_f32_e32 v116, v48, v244                              // 00000002096C: 0AE9E930
	v_mul_f32_e32 v117, v48, v245                              // 000000020970: 0AEBEB30
	v_mul_f32_e32 v118, v48, v246                              // 000000020974: 0AEDED30
	v_mul_f32_e32 v119, v48, v247                              // 000000020978: 0AEFEF30
	v_mul_f32_e32 v120, v48, v248                              // 00000002097C: 0AF1F130
	v_mul_f32_e32 v121, v48, v249                              // 000000020980: 0AF3F330
	v_mul_f32_e32 v122, v48, v250                              // 000000020984: 0AF5F530
	v_mul_f32_e32 v123, v48, v251                              // 000000020988: 0AF7F730
	v_mul_f32_e32 v124, v48, v252                              // 00000002098C: 0AF9F930
	v_mul_f32_e32 v125, v48, v253                              // 000000020990: 0AFBFB30
	v_mul_f32_e32 v126, v48, v254                              // 000000020994: 0AFDFD30
	v_mul_f32_e32 v127, v48, v255                              // 000000020998: 0AFFFF30
	v_cvt_pk_fp8_f32 v112, v112, v113                          // 00000002099C: D2A20070 0002E370
	v_cvt_pk_fp8_f32 v112, v114, v115 op_sel:[0,0,1]           // 0000000209A4: D2A24070 0002E772
	v_cvt_pk_fp8_f32 v113, v116, v117                          // 0000000209AC: D2A20071 0002EB74
	v_cvt_pk_fp8_f32 v113, v118, v119 op_sel:[0,0,1]           // 0000000209B4: D2A24071 0002EF76
	v_cvt_pk_fp8_f32 v114, v120, v121                          // 0000000209BC: D2A20072 0002F378
	v_cvt_pk_fp8_f32 v114, v122, v123 op_sel:[0,0,1]           // 0000000209C4: D2A24072 0002F77A
	v_cvt_pk_fp8_f32 v115, v124, v125                          // 0000000209CC: D2A20073 0002FB7C
	v_cvt_pk_fp8_f32 v115, v126, v127 op_sel:[0,0,1]           // 0000000209D4: D2A24073 0002FF7E
	ds_write_b32 v10, v112 offset:25088                        // 0000000209DC: D81A6200 0000700A
	ds_write_b32 v10, v113 offset:26112                        // 0000000209E4: D81A6600 0000710A
	ds_write_b32 v10, v114 offset:27136                        // 0000000209EC: D81A6A00 0000720A
	ds_write_b32 v10, v115 offset:28160                        // 0000000209F4: D81A6E00 0000730A
	v_add_f32_e32 v208, v208, v176                             // 0000000209FC: 03A161D0
	v_add_f32_e32 v209, v209, v177                             // 000000020A00: 03A363D1
	v_add_f32_e32 v210, v210, v178                             // 000000020A04: 03A565D2
	v_add_f32_e32 v211, v211, v179                             // 000000020A08: 03A767D3
	v_add_f32_e32 v212, v212, v180                             // 000000020A0C: 03A969D4
	v_add_f32_e32 v213, v213, v181                             // 000000020A10: 03AB6BD5
	v_add_f32_e32 v214, v214, v182                             // 000000020A14: 03AD6DD6
	v_add_f32_e32 v215, v215, v183                             // 000000020A18: 03AF6FD7
	v_rcp_f32_e32 v44, v48                                     // 000000020A1C: 7E584530
	s_waitcnt lgkmcnt(0)                                       // 000000020A20: BF8CC07F
	s_barrier                                                  // 000000020A24: BF8A0000
	ds_read_b64 v[112:113], v9 offset:25088                    // 000000020A28: D8EC6200 70000009
	ds_read_b64 v[114:115], v9 offset:25216                    // 000000020A30: D8EC6280 72000009
	ds_read_b64 v[116:117], v9 offset:26112                    // 000000020A38: D8EC6600 74000009
	ds_read_b64 v[118:119], v9 offset:26240                    // 000000020A40: D8EC6680 76000009
	ds_read_b64 v[120:121], v9 offset:27136                    // 000000020A48: D8EC6A00 78000009
	ds_read_b64 v[122:123], v9 offset:27264                    // 000000020A50: D8EC6A80 7A000009
	ds_read_b64 v[124:125], v9 offset:28160                    // 000000020A58: D8EC6E00 7C000009
	ds_read_b64 v[126:127], v9 offset:28288                    // 000000020A60: D8EC6E80 7E000009
	v_mov_b32_dpp v64, v43 row_shr:4 row_mask:0xf bank_mask:0xf// 000000020A68: 7E8002FA FF01142B
	v_mov_b32_dpp v65, v43 row_shl:4 row_mask:0xf bank_mask:0xf// 000000020A70: 7E8202FA FF01042B
	v_cndmask_b32_e64 v248, v43, v64, s[44:45]                 // 000000020A78: D10000F8 00B2812B
	v_cndmask_b32_e64 v249, v65, v43, s[44:45]                 // 000000020A80: D10000F9 00B25741
	v_mov_b32_dpp v64, v248 row_shr:8 row_mask:0xf bank_mask:0xf// 000000020A88: 7E8002FA FF0118F8
	v_mov_b32_dpp v65, v248 row_shl:8 row_mask:0xf bank_mask:0xf// 000000020A90: 7E8202FA FF0108F8
	v_mov_b32_dpp v66, v249 row_shr:8 row_mask:0xf bank_mask:0xf// 000000020A98: 7E8402FA FF0118F9
	v_mov_b32_dpp v67, v249 row_shl:8 row_mask:0xf bank_mask:0xf// 000000020AA0: 7E8602FA FF0108F9
	v_mov_b32_e32 v68, v248                                    // 000000020AA8: 7E8803F8
	v_mov_b32_e32 v69, v249                                    // 000000020AAC: 7E8A03F9
	v_cndmask_b32_e64 v248, v68, v64, s[42:43]                 // 000000020AB0: D10000F8 00AA8144
	v_cndmask_b32_e64 v250, v68, v65, s[78:79]                 // 000000020AB8: D10000FA 013A8344
	v_cndmask_b32_e64 v249, v69, v66, s[42:43]                 // 000000020AC0: D10000F9 00AA8545
	v_cndmask_b32_e64 v251, v69, v67, s[78:79]                 // 000000020AC8: D10000FB 013A8745
	v_mov_b32_dpp v64, v58 row_shr:4 row_mask:0xf bank_mask:0xf// 000000020AD0: 7E8002FA FF01143A
	v_mov_b32_dpp v65, v58 row_shl:4 row_mask:0xf bank_mask:0xf// 000000020AD8: 7E8202FA FF01043A
	v_cndmask_b32_e64 v252, v58, v64, s[44:45]                 // 000000020AE0: D10000FC 00B2813A
	v_cndmask_b32_e64 v253, v65, v58, s[44:45]                 // 000000020AE8: D10000FD 00B27541
	v_mov_b32_dpp v64, v252 row_shr:8 row_mask:0xf bank_mask:0xf// 000000020AF0: 7E8002FA FF0118FC
	v_mov_b32_dpp v65, v252 row_shl:8 row_mask:0xf bank_mask:0xf// 000000020AF8: 7E8202FA FF0108FC
	v_mov_b32_dpp v66, v253 row_shr:8 row_mask:0xf bank_mask:0xf// 000000020B00: 7E8402FA FF0118FD
	v_mov_b32_dpp v67, v253 row_shl:8 row_mask:0xf bank_mask:0xf// 000000020B08: 7E8602FA FF0108FD
	v_mov_b32_e32 v68, v252                                    // 000000020B10: 7E8803FC
	v_mov_b32_e32 v69, v253                                    // 000000020B14: 7E8A03FD
	v_cndmask_b32_e64 v252, v68, v64, s[42:43]                 // 000000020B18: D10000FC 00AA8144
	v_cndmask_b32_e64 v254, v68, v65, s[78:79]                 // 000000020B20: D10000FE 013A8344
	v_cndmask_b32_e64 v253, v69, v66, s[42:43]                 // 000000020B28: D10000FD 00AA8545
	v_cndmask_b32_e64 v255, v69, v67, s[78:79]                 // 000000020B30: D10000FF 013A8745
	v_mul_f32_e32 v128, v19, v128                              // 000000020B38: 0B010113
	v_mul_f32_e32 v129, v19, v129                              // 000000020B3C: 0B030313
	v_mul_f32_e32 v130, v19, v130                              // 000000020B40: 0B050513
	v_mul_f32_e32 v131, v19, v131                              // 000000020B44: 0B070713
	v_mul_f32_e32 v132, v19, v132                              // 000000020B48: 0B090913
	v_mul_f32_e32 v133, v19, v133                              // 000000020B4C: 0B0B0B13
	v_mul_f32_e32 v134, v19, v134                              // 000000020B50: 0B0D0D13
	v_mul_f32_e32 v135, v19, v135                              // 000000020B54: 0B0F0F13
	v_mul_f32_e32 v136, v19, v136                              // 000000020B58: 0B111113
	v_mul_f32_e32 v137, v19, v137                              // 000000020B5C: 0B131313
	v_mul_f32_e32 v138, v19, v138                              // 000000020B60: 0B151513
	v_mul_f32_e32 v139, v19, v139                              // 000000020B64: 0B171713
	v_mul_f32_e32 v140, v19, v140                              // 000000020B68: 0B191913
	v_mul_f32_e32 v141, v19, v141                              // 000000020B6C: 0B1B1B13
	v_mul_f32_e32 v142, v19, v142                              // 000000020B70: 0B1D1D13
	v_mul_f32_e32 v143, v19, v143                              // 000000020B74: 0B1F1F13
	v_mul_f32_dpp v128, v248, v128 quad_perm:[0,0,0,0] row_mask:0xf bank_mask:0xf// 000000020B78: 0B0100FA FF0000F8
	v_mul_f32_dpp v129, v248, v129 quad_perm:[1,1,1,1] row_mask:0xf bank_mask:0xf// 000000020B80: 0B0302FA FF0055F8
	v_mul_f32_dpp v130, v248, v130 quad_perm:[2,2,2,2] row_mask:0xf bank_mask:0xf// 000000020B88: 0B0504FA FF00AAF8
	v_mul_f32_dpp v131, v248, v131 quad_perm:[3,3,3,3] row_mask:0xf bank_mask:0xf// 000000020B90: 0B0706FA FF00FFF8
	v_mul_f32_dpp v132, v249, v132 quad_perm:[0,0,0,0] row_mask:0xf bank_mask:0xf// 000000020B98: 0B0908FA FF0000F9
	v_mul_f32_dpp v133, v249, v133 quad_perm:[1,1,1,1] row_mask:0xf bank_mask:0xf// 000000020BA0: 0B0B0AFA FF0055F9
	v_mul_f32_dpp v134, v249, v134 quad_perm:[2,2,2,2] row_mask:0xf bank_mask:0xf// 000000020BA8: 0B0D0CFA FF00AAF9
	v_mul_f32_dpp v135, v249, v135 quad_perm:[3,3,3,3] row_mask:0xf bank_mask:0xf// 000000020BB0: 0B0F0EFA FF00FFF9
	v_mul_f32_dpp v136, v250, v136 quad_perm:[0,0,0,0] row_mask:0xf bank_mask:0xf// 000000020BB8: 0B1110FA FF0000FA
	v_mul_f32_dpp v137, v250, v137 quad_perm:[1,1,1,1] row_mask:0xf bank_mask:0xf// 000000020BC0: 0B1312FA FF0055FA
	v_mul_f32_dpp v138, v250, v138 quad_perm:[2,2,2,2] row_mask:0xf bank_mask:0xf// 000000020BC8: 0B1514FA FF00AAFA
	v_mul_f32_dpp v139, v250, v139 quad_perm:[3,3,3,3] row_mask:0xf bank_mask:0xf// 000000020BD0: 0B1716FA FF00FFFA
	v_mul_f32_dpp v140, v251, v140 quad_perm:[0,0,0,0] row_mask:0xf bank_mask:0xf// 000000020BD8: 0B1918FA FF0000FB
	v_mul_f32_dpp v141, v251, v141 quad_perm:[1,1,1,1] row_mask:0xf bank_mask:0xf// 000000020BE0: 0B1B1AFA FF0055FB
	v_mul_f32_dpp v142, v251, v142 quad_perm:[2,2,2,2] row_mask:0xf bank_mask:0xf// 000000020BE8: 0B1D1CFA FF00AAFB
	v_mul_f32_dpp v143, v251, v143 quad_perm:[3,3,3,3] row_mask:0xf bank_mask:0xf// 000000020BF0: 0B1F1EFA FF00FFFB
	v_mov_b32_e32 v48, v128                                    // 000000020BF8: 7E600380
	v_max3_f32 v48, v128, v129, v48                            // 000000020BFC: D1D30030 04C30380
	v_max3_f32 v48, v130, v131, v48                            // 000000020C04: D1D30030 04C30782
	v_max3_f32 v48, v132, v133, v48                            // 000000020C0C: D1D30030 04C30B84
	v_max3_f32 v48, v134, v135, v48                            // 000000020C14: D1D30030 04C30F86
	v_max3_f32 v48, v136, v137, v48                            // 000000020C1C: D1D30030 04C31388
	v_max3_f32 v48, v138, v139, v48                            // 000000020C24: D1D30030 04C3178A
	v_max3_f32 v48, v140, v141, v48                            // 000000020C2C: D1D30030 04C31B8C
	v_max3_f32 v48, v142, v143, v48                            // 000000020C34: D1D30030 04C31F8E
	ds_write_b32 v8, v48 offset:16896                          // 000000020C3C: D81A4200 00003008
	v_mul_f32_e32 v216, v50, v216                              // 000000020C44: 0BB1B132
	v_mul_f32_e32 v217, v50, v217                              // 000000020C48: 0BB3B332
	v_mul_f32_e32 v218, v50, v218                              // 000000020C4C: 0BB5B532
	v_mul_f32_e32 v219, v50, v219                              // 000000020C50: 0BB7B732
	v_mul_f32_e32 v220, v50, v220                              // 000000020C54: 0BB9B932
	v_mul_f32_e32 v221, v50, v221                              // 000000020C58: 0BBBBB32
	v_mul_f32_e32 v222, v50, v222                              // 000000020C5C: 0BBDBD32
	v_mul_f32_e32 v223, v50, v223                              // 000000020C60: 0BBFBF32
	s_waitcnt lgkmcnt(0)                                       // 000000020C64: BF8CC07F
	s_barrier                                                  // 000000020C68: BF8A0000
	ds_read_b32 v64, v7 offset:16896                           // 000000020C6C: D86C4200 40000007
	ds_read_b32 v65, v7 offset:16960                           // 000000020C74: D86C4240 41000007
	ds_read_b32 v66, v7 offset:17024                           // 000000020C7C: D86C4280 42000007
	ds_read_b32 v67, v7 offset:17088                           // 000000020C84: D86C42C0 43000007
	ds_read_b32 v68, v7 offset:17152                           // 000000020C8C: D86C4300 44000007
	ds_read_b32 v69, v7 offset:17216                           // 000000020C94: D86C4340 45000007
	ds_read_b32 v70, v7 offset:17280                           // 000000020C9C: D86C4380 46000007
	ds_read_b32 v71, v7 offset:17344                           // 000000020CA4: D86C43C0 47000007
	ds_read_b32 v72, v7 offset:17408                           // 000000020CAC: D86C4400 48000007
	ds_read_b32 v73, v7 offset:17472                           // 000000020CB4: D86C4440 49000007
	ds_read_b32 v74, v7 offset:17536                           // 000000020CBC: D86C4480 4A000007
	ds_read_b32 v75, v7 offset:17600                           // 000000020CC4: D86C44C0 4B000007
	ds_read_b32 v76, v7 offset:17664                           // 000000020CCC: D86C4500 4C000007
	ds_read_b32 v77, v7 offset:17728                           // 000000020CD4: D86C4540 4D000007
	ds_read_b32 v78, v7 offset:17792                           // 000000020CDC: D86C4580 4E000007
	ds_read_b32 v79, v7 offset:17856                           // 000000020CE4: D86C45C0 4F000007
	v_mul_f32_e32 v184, v45, v184                              // 000000020CEC: 0B71712D
	v_mul_f32_e32 v185, v45, v185                              // 000000020CF0: 0B73732D
	v_mul_f32_e32 v186, v45, v186                              // 000000020CF4: 0B75752D
	v_mul_f32_e32 v187, v45, v187                              // 000000020CF8: 0B77772D
	v_mul_f32_e32 v188, v45, v188                              // 000000020CFC: 0B79792D
	v_mul_f32_e32 v189, v45, v189                              // 000000020D00: 0B7B7B2D
	v_mul_f32_e32 v190, v45, v190                              // 000000020D04: 0B7D7D2D
	v_mul_f32_e32 v191, v45, v191                              // 000000020D08: 0B7F7F2D
	s_waitcnt lgkmcnt(0)                                       // 000000020D0C: BF8CC07F
	v_max3_f32 v48, v64, v65, v48                              // 000000020D10: D1D30030 04C28340
	v_max3_f32 v48, v66, v67, v48                              // 000000020D18: D1D30030 04C28742
	v_max3_f32 v48, v68, v69, v48                              // 000000020D20: D1D30030 04C28B44
	v_max3_f32 v48, v70, v71, v48                              // 000000020D28: D1D30030 04C28F46
	v_max3_f32 v48, v72, v73, v48                              // 000000020D30: D1D30030 04C29348
	v_max3_f32 v48, v74, v75, v48                              // 000000020D38: D1D30030 04C2974A
	v_max3_f32 v48, v76, v77, v48                              // 000000020D40: D1D30030 04C29B4C
	v_max3_f32 v48, v78, v79, v48                              // 000000020D48: D1D30030 04C29F4E
	v_mov_b32_e32 v64, 0xff800000                              // 000000020D50: 7E8002FF FF800000
	v_cmp_eq_u32_e64 s[40:41], v64, v12                        // 000000020D58: D0CA0028 00021940
	s_nop 1                                                    // 000000020D60: BF800001
	v_max_f32_e32 v15, v48, v12                                // 000000020D64: 161E1930
	v_mul_f32_e32 v53, s64, v15                                // 000000020D68: 0A6A1E40
	v_fma_f32 v128, v128, s64, -v53                            // 000000020D6C: D1CB0080 84D48180
	v_fma_f32 v129, v129, s64, -v53                            // 000000020D74: D1CB0081 84D48181
	v_fma_f32 v130, v130, s64, -v53                            // 000000020D7C: D1CB0082 84D48182
	v_fma_f32 v131, v131, s64, -v53                            // 000000020D84: D1CB0083 84D48183
	v_fma_f32 v132, v132, s64, -v53                            // 000000020D8C: D1CB0084 84D48184
	v_fma_f32 v133, v133, s64, -v53                            // 000000020D94: D1CB0085 84D48185
	v_fma_f32 v134, v134, s64, -v53                            // 000000020D9C: D1CB0086 84D48186
	v_fma_f32 v135, v135, s64, -v53                            // 000000020DA4: D1CB0087 84D48187
	v_fma_f32 v136, v136, s64, -v53                            // 000000020DAC: D1CB0088 84D48188
	v_fma_f32 v137, v137, s64, -v53                            // 000000020DB4: D1CB0089 84D48189
	v_fma_f32 v138, v138, s64, -v53                            // 000000020DBC: D1CB008A 84D4818A
	v_fma_f32 v139, v139, s64, -v53                            // 000000020DC4: D1CB008B 84D4818B
	v_fma_f32 v140, v140, s64, -v53                            // 000000020DCC: D1CB008C 84D4818C
	v_fma_f32 v141, v141, s64, -v53                            // 000000020DD4: D1CB008D 84D4818D
	v_fma_f32 v142, v142, s64, -v53                            // 000000020DDC: D1CB008E 84D4818E
	v_fma_f32 v143, v143, s64, -v53                            // 000000020DE4: D1CB008F 84D4818F
	v_exp_f32_e32 v128, v128                                   // 000000020DEC: 7F004180
	v_exp_f32_e32 v129, v129                                   // 000000020DF0: 7F024181
	v_exp_f32_e32 v130, v130                                   // 000000020DF4: 7F044182
	v_exp_f32_e32 v131, v131                                   // 000000020DF8: 7F064183
	v_exp_f32_e32 v132, v132                                   // 000000020DFC: 7F084184
	v_exp_f32_e32 v133, v133                                   // 000000020E00: 7F0A4185
	v_exp_f32_e32 v134, v134                                   // 000000020E04: 7F0C4186
	v_exp_f32_e32 v135, v135                                   // 000000020E08: 7F0E4187
	v_exp_f32_e32 v136, v136                                   // 000000020E0C: 7F104188
	v_exp_f32_e32 v137, v137                                   // 000000020E10: 7F124189
	v_exp_f32_e32 v138, v138                                   // 000000020E14: 7F14418A
	v_exp_f32_e32 v139, v139                                   // 000000020E18: 7F16418B
	v_exp_f32_e32 v140, v140                                   // 000000020E1C: 7F18418C
	v_exp_f32_e32 v141, v141                                   // 000000020E20: 7F1A418D
	v_exp_f32_e32 v142, v142                                   // 000000020E24: 7F1C418E
	v_exp_f32_e32 v143, v143                                   // 000000020E28: 7F1E418F
	v_mul_f32_dpp v240, v252, v128 quad_perm:[0,0,0,0] row_mask:0xf bank_mask:0xf// 000000020E2C: 0BE100FA FF0000FC
	v_mul_f32_dpp v241, v252, v129 quad_perm:[1,1,1,1] row_mask:0xf bank_mask:0xf// 000000020E34: 0BE302FA FF0055FC
	v_mul_f32_dpp v242, v252, v130 quad_perm:[2,2,2,2] row_mask:0xf bank_mask:0xf// 000000020E3C: 0BE504FA FF00AAFC
	v_mul_f32_dpp v243, v252, v131 quad_perm:[3,3,3,3] row_mask:0xf bank_mask:0xf// 000000020E44: 0BE706FA FF00FFFC
	v_mul_f32_dpp v244, v253, v132 quad_perm:[0,0,0,0] row_mask:0xf bank_mask:0xf// 000000020E4C: 0BE908FA FF0000FD
	v_mul_f32_dpp v245, v253, v133 quad_perm:[1,1,1,1] row_mask:0xf bank_mask:0xf// 000000020E54: 0BEB0AFA FF0055FD
	v_mul_f32_dpp v246, v253, v134 quad_perm:[2,2,2,2] row_mask:0xf bank_mask:0xf// 000000020E5C: 0BED0CFA FF00AAFD
	v_mul_f32_dpp v247, v253, v135 quad_perm:[3,3,3,3] row_mask:0xf bank_mask:0xf// 000000020E64: 0BEF0EFA FF00FFFD
	v_mul_f32_dpp v248, v254, v136 quad_perm:[0,0,0,0] row_mask:0xf bank_mask:0xf// 000000020E6C: 0BF110FA FF0000FE
	v_mul_f32_dpp v249, v254, v137 quad_perm:[1,1,1,1] row_mask:0xf bank_mask:0xf// 000000020E74: 0BF312FA FF0055FE
	v_mul_f32_dpp v250, v254, v138 quad_perm:[2,2,2,2] row_mask:0xf bank_mask:0xf// 000000020E7C: 0BF514FA FF00AAFE
	v_mul_f32_dpp v251, v254, v139 quad_perm:[3,3,3,3] row_mask:0xf bank_mask:0xf// 000000020E84: 0BF716FA FF00FFFE
	v_mul_f32_dpp v252, v255, v140 quad_perm:[0,0,0,0] row_mask:0xf bank_mask:0xf// 000000020E8C: 0BF918FA FF0000FF
	v_mul_f32_dpp v253, v255, v141 quad_perm:[1,1,1,1] row_mask:0xf bank_mask:0xf// 000000020E94: 0BFB1AFA FF0055FF
	v_mul_f32_dpp v254, v255, v142 quad_perm:[2,2,2,2] row_mask:0xf bank_mask:0xf// 000000020E9C: 0BFD1CFA FF00AAFF
	v_mul_f32_dpp v255, v255, v143 quad_perm:[3,3,3,3] row_mask:0xf bank_mask:0xf// 000000020EA4: 0BFF1EFA FF00FFFF
	v_mov_b32_e32 v48, 0x358637bd                              // 000000020EAC: 7E6002FF 358637BD
	v_max3_f32 v48, |v240|, |v241|, v48                        // 000000020EB4: D1D30330 04C3E3F0
	v_max3_f32 v48, |v242|, |v243|, v48                        // 000000020EBC: D1D30330 04C3E7F2
	v_max3_f32 v48, |v244|, |v245|, v48                        // 000000020EC4: D1D30330 04C3EBF4
	v_max3_f32 v48, |v246|, |v247|, v48                        // 000000020ECC: D1D30330 04C3EFF6
	v_max3_f32 v48, |v248|, |v249|, v48                        // 000000020ED4: D1D30330 04C3F3F8
	v_max3_f32 v48, |v250|, |v251|, v48                        // 000000020EDC: D1D30330 04C3F7FA
	v_max3_f32 v48, |v252|, |v253|, v48                        // 000000020EE4: D1D30330 04C3FBFC
	v_max3_f32 v48, |v254|, |v255|, v48                        // 000000020EEC: D1D30330 04C3FFFE
	ds_write_b32 v8, v48 offset:20992                          // 000000020EF4: D81A5200 00003008
	v_sub_f32_e32 v50, v12, v15                                // 000000020EFC: 04641F0C
	v_cndmask_b32_e64 v50, v50, 0, s[40:41]                    // 000000020F00: D1000032 00A10132
	v_mov_b32_e32 v12, v15                                     // 000000020F08: 7E18030F
	v_mul_f32_e32 v50, s64, v50                                // 000000020F0C: 0A646440
	v_exp_f32_e32 v50, v50                                     // 000000020F10: 7E644132
	s_waitcnt lgkmcnt(0)                                       // 000000020F14: BF8CC07F
	s_barrier                                                  // 000000020F18: BF8A0000
	ds_read_b32 v64, v7 offset:20992                           // 000000020F1C: D86C5200 40000007
	ds_read_b32 v65, v7 offset:21056                           // 000000020F24: D86C5240 41000007
	ds_read_b32 v66, v7 offset:21120                           // 000000020F2C: D86C5280 42000007
	ds_read_b32 v67, v7 offset:21184                           // 000000020F34: D86C52C0 43000007
	ds_read_b32 v68, v7 offset:21248                           // 000000020F3C: D86C5300 44000007
	ds_read_b32 v69, v7 offset:21312                           // 000000020F44: D86C5340 45000007
	ds_read_b32 v70, v7 offset:21376                           // 000000020F4C: D86C5380 46000007
	ds_read_b32 v71, v7 offset:21440                           // 000000020F54: D86C53C0 47000007
	ds_read_b32 v72, v7 offset:21504                           // 000000020F5C: D86C5400 48000007
	ds_read_b32 v73, v7 offset:21568                           // 000000020F64: D86C5440 49000007
	ds_read_b32 v74, v7 offset:21632                           // 000000020F6C: D86C5480 4A000007
	ds_read_b32 v75, v7 offset:21696                           // 000000020F74: D86C54C0 4B000007
	ds_read_b32 v76, v7 offset:21760                           // 000000020F7C: D86C5500 4C000007
	ds_read_b32 v77, v7 offset:21824                           // 000000020F84: D86C5540 4D000007
	ds_read_b32 v78, v7 offset:21888                           // 000000020F8C: D86C5580 4E000007
	ds_read_b32 v79, v7 offset:21952                           // 000000020F94: D86C55C0 4F000007
	v_mul_f32_e32 v39, v50, v39                                // 000000020F9C: 0A4E4F32
	v_mov_b32_e32 v15, v128                                    // 000000020FA0: 7E1E0380
	v_add_f32_e32 v15, v129, v15                               // 000000020FA4: 021E1F81
	v_add_f32_e32 v15, v130, v15                               // 000000020FA8: 021E1F82
	v_add_f32_e32 v15, v131, v15                               // 000000020FAC: 021E1F83
	v_add_f32_e32 v15, v132, v15                               // 000000020FB0: 021E1F84
	v_add_f32_e32 v15, v133, v15                               // 000000020FB4: 021E1F85
	v_add_f32_e32 v15, v134, v15                               // 000000020FB8: 021E1F86
	v_add_f32_e32 v15, v135, v15                               // 000000020FBC: 021E1F87
	v_add_f32_e32 v15, v136, v15                               // 000000020FC0: 021E1F88
	v_add_f32_e32 v15, v137, v15                               // 000000020FC4: 021E1F89
	v_add_f32_e32 v15, v138, v15                               // 000000020FC8: 021E1F8A
	v_add_f32_e32 v15, v139, v15                               // 000000020FCC: 021E1F8B
	v_add_f32_e32 v15, v140, v15                               // 000000020FD0: 021E1F8C
	v_add_f32_e32 v15, v141, v15                               // 000000020FD4: 021E1F8D
	v_add_f32_e32 v15, v142, v15                               // 000000020FD8: 021E1F8E
	v_add_f32_e32 v15, v143, v15                               // 000000020FDC: 021E1F8F
	v_add_f32_e32 v39, v15, v39                                // 000000020FE0: 024E4F0F
	s_waitcnt lgkmcnt(0)                                       // 000000020FE4: BF8CC07F
	v_max3_f32 v48, |v64|, |v65|, v48                          // 000000020FE8: D1D30330 04C28340
	v_max3_f32 v48, |v66|, |v67|, v48                          // 000000020FF0: D1D30330 04C28742
	v_max3_f32 v48, |v68|, |v69|, v48                          // 000000020FF8: D1D30330 04C28B44
	v_max3_f32 v48, |v70|, |v71|, v48                          // 000000021000: D1D30330 04C28F46
	v_max3_f32 v48, |v72|, |v73|, v48                          // 000000021008: D1D30330 04C29348
	v_max3_f32 v48, |v74|, |v75|, v48                          // 000000021010: D1D30330 04C2974A
	v_max3_f32 v48, |v76|, |v77|, v48                          // 000000021018: D1D30330 04C29B4C
	v_max3_f32 v48, |v78|, |v79|, v48                          // 000000021020: D1D30330 04C29F4E
	s_nop 2                                                    // 000000021028: BF800002
	v_rcp_f32_e32 v48, v48                                     // 00000002102C: 7E604530
	s_nop 1                                                    // 000000021030: BF800001
	v_mul_f32_e32 v48, 0x43e00000, v48                         // 000000021034: 0A6060FF 43E00000
	v_mul_f32_e32 v128, v48, v240                              // 00000002103C: 0B01E130
	v_mul_f32_e32 v129, v48, v241                              // 000000021040: 0B03E330
	v_mul_f32_e32 v130, v48, v242                              // 000000021044: 0B05E530
	v_mul_f32_e32 v131, v48, v243                              // 000000021048: 0B07E730
	v_mul_f32_e32 v132, v48, v244                              // 00000002104C: 0B09E930
	v_mul_f32_e32 v133, v48, v245                              // 000000021050: 0B0BEB30
	v_mul_f32_e32 v134, v48, v246                              // 000000021054: 0B0DED30
	v_mul_f32_e32 v135, v48, v247                              // 000000021058: 0B0FEF30
	v_mul_f32_e32 v136, v48, v248                              // 00000002105C: 0B11F130
	v_mul_f32_e32 v137, v48, v249                              // 000000021060: 0B13F330
	v_mul_f32_e32 v138, v48, v250                              // 000000021064: 0B15F530
	v_mul_f32_e32 v139, v48, v251                              // 000000021068: 0B17F730
	v_mul_f32_e32 v140, v48, v252                              // 00000002106C: 0B19F930
	v_mul_f32_e32 v141, v48, v253                              // 000000021070: 0B1BFB30
	v_mul_f32_e32 v142, v48, v254                              // 000000021074: 0B1DFD30
	v_mul_f32_e32 v143, v48, v255                              // 000000021078: 0B1FFF30
	v_cvt_pk_fp8_f32 v128, v128, v129                          // 00000002107C: D2A20080 00030380
	v_cvt_pk_fp8_f32 v128, v130, v131 op_sel:[0,0,1]           // 000000021084: D2A24080 00030782
	v_cvt_pk_fp8_f32 v129, v132, v133                          // 00000002108C: D2A20081 00030B84
	v_cvt_pk_fp8_f32 v129, v134, v135 op_sel:[0,0,1]           // 000000021094: D2A24081 00030F86
	v_cvt_pk_fp8_f32 v130, v136, v137                          // 00000002109C: D2A20082 00031388
	v_cvt_pk_fp8_f32 v130, v138, v139 op_sel:[0,0,1]           // 0000000210A4: D2A24082 0003178A
	v_cvt_pk_fp8_f32 v131, v140, v141                          // 0000000210AC: D2A20083 00031B8C
	v_cvt_pk_fp8_f32 v131, v142, v143 op_sel:[0,0,1]           // 0000000210B4: D2A24083 00031F8E
	ds_write_b32 v10, v128 offset:29184                        // 0000000210BC: D81A7200 0000800A
	ds_write_b32 v10, v129 offset:30208                        // 0000000210C4: D81A7600 0000810A
	ds_write_b32 v10, v130 offset:31232                        // 0000000210CC: D81A7A00 0000820A
	ds_write_b32 v10, v131 offset:32256                        // 0000000210D4: D81A7E00 0000830A
	v_add_f32_e32 v216, v216, v184                             // 0000000210DC: 03B171D8
	v_add_f32_e32 v217, v217, v185                             // 0000000210E0: 03B373D9
	v_add_f32_e32 v218, v218, v186                             // 0000000210E4: 03B575DA
	v_add_f32_e32 v219, v219, v187                             // 0000000210E8: 03B777DB
	v_add_f32_e32 v220, v220, v188                             // 0000000210EC: 03B979DC
	v_add_f32_e32 v221, v221, v189                             // 0000000210F0: 03BB7BDD
	v_add_f32_e32 v222, v222, v190                             // 0000000210F4: 03BD7DDE
	v_add_f32_e32 v223, v223, v191                             // 0000000210F8: 03BF7FDF
	v_rcp_f32_e32 v45, v48                                     // 0000000210FC: 7E5A4530
	s_waitcnt lgkmcnt(0)                                       // 000000021100: BF8CC07F
	s_barrier                                                  // 000000021104: BF8A0000
	ds_read_b64 v[128:129], v9 offset:29184                    // 000000021108: D8EC7200 80000009
	ds_read_b64 v[130:131], v9 offset:29312                    // 000000021110: D8EC7280 82000009
	ds_read_b64 v[132:133], v9 offset:30208                    // 000000021118: D8EC7600 84000009
	ds_read_b64 v[134:135], v9 offset:30336                    // 000000021120: D8EC7680 86000009
	ds_read_b64 v[136:137], v9 offset:31232                    // 000000021128: D8EC7A00 88000009
	ds_read_b64 v[138:139], v9 offset:31360                    // 000000021130: D8EC7A80 8A000009
	ds_read_b64 v[140:141], v9 offset:32256                    // 000000021138: D8EC7E00 8C000009
	ds_read_b64 v[142:143], v9 offset:32384                    // 000000021140: D8EC7E80 8E000009
	v_mov_b32_dpp v64, v43 row_shr:4 row_mask:0xf bank_mask:0xf// 000000021148: 7E8002FA FF01142B
	v_mov_b32_dpp v65, v43 row_shl:4 row_mask:0xf bank_mask:0xf// 000000021150: 7E8202FA FF01042B
	v_cndmask_b32_e64 v248, v43, v64, s[44:45]                 // 000000021158: D10000F8 00B2812B
	v_cndmask_b32_e64 v249, v65, v43, s[44:45]                 // 000000021160: D10000F9 00B25741
	v_mov_b32_dpp v64, v248 row_shr:8 row_mask:0xf bank_mask:0xf// 000000021168: 7E8002FA FF0118F8
	v_mov_b32_dpp v65, v248 row_shl:8 row_mask:0xf bank_mask:0xf// 000000021170: 7E8202FA FF0108F8
	v_mov_b32_dpp v66, v249 row_shr:8 row_mask:0xf bank_mask:0xf// 000000021178: 7E8402FA FF0118F9
	v_mov_b32_dpp v67, v249 row_shl:8 row_mask:0xf bank_mask:0xf// 000000021180: 7E8602FA FF0108F9
	v_mov_b32_e32 v68, v248                                    // 000000021188: 7E8803F8
	v_mov_b32_e32 v69, v249                                    // 00000002118C: 7E8A03F9
	v_cndmask_b32_e64 v248, v68, v64, s[42:43]                 // 000000021190: D10000F8 00AA8144
	v_cndmask_b32_e64 v250, v68, v65, s[78:79]                 // 000000021198: D10000FA 013A8344
	v_cndmask_b32_e64 v249, v69, v66, s[42:43]                 // 0000000211A0: D10000F9 00AA8545
	v_cndmask_b32_e64 v251, v69, v67, s[78:79]                 // 0000000211A8: D10000FB 013A8745
	v_mov_b32_dpp v64, v58 row_shr:4 row_mask:0xf bank_mask:0xf// 0000000211B0: 7E8002FA FF01143A
	v_mov_b32_dpp v65, v58 row_shl:4 row_mask:0xf bank_mask:0xf// 0000000211B8: 7E8202FA FF01043A
	v_cndmask_b32_e64 v252, v58, v64, s[44:45]                 // 0000000211C0: D10000FC 00B2813A
	v_cndmask_b32_e64 v253, v65, v58, s[44:45]                 // 0000000211C8: D10000FD 00B27541
	v_mov_b32_dpp v64, v252 row_shr:8 row_mask:0xf bank_mask:0xf// 0000000211D0: 7E8002FA FF0118FC
	v_mov_b32_dpp v65, v252 row_shl:8 row_mask:0xf bank_mask:0xf// 0000000211D8: 7E8202FA FF0108FC
	v_mov_b32_dpp v66, v253 row_shr:8 row_mask:0xf bank_mask:0xf// 0000000211E0: 7E8402FA FF0118FD
	v_mov_b32_dpp v67, v253 row_shl:8 row_mask:0xf bank_mask:0xf// 0000000211E8: 7E8602FA FF0108FD
	v_mov_b32_e32 v68, v252                                    // 0000000211F0: 7E8803FC
	v_mov_b32_e32 v69, v253                                    // 0000000211F4: 7E8A03FD
	v_cndmask_b32_e64 v252, v68, v64, s[42:43]                 // 0000000211F8: D10000FC 00AA8144
	v_cndmask_b32_e64 v254, v68, v65, s[78:79]                 // 000000021200: D10000FE 013A8344
	v_cndmask_b32_e64 v253, v69, v66, s[42:43]                 // 000000021208: D10000FD 00AA8545
	v_cndmask_b32_e64 v255, v69, v67, s[78:79]                 // 000000021210: D10000FF 013A8745
	v_mul_f32_e32 v144, v20, v144                              // 000000021218: 0B212114
	v_mul_f32_e32 v145, v20, v145                              // 00000002121C: 0B232314
	v_mul_f32_e32 v146, v20, v146                              // 000000021220: 0B252514
	v_mul_f32_e32 v147, v20, v147                              // 000000021224: 0B272714
	v_mul_f32_e32 v148, v20, v148                              // 000000021228: 0B292914
	v_mul_f32_e32 v149, v20, v149                              // 00000002122C: 0B2B2B14
	v_mul_f32_e32 v150, v20, v150                              // 000000021230: 0B2D2D14
	v_mul_f32_e32 v151, v20, v151                              // 000000021234: 0B2F2F14
	v_mul_f32_e32 v152, v20, v152                              // 000000021238: 0B313114
	v_mul_f32_e32 v153, v20, v153                              // 00000002123C: 0B333314
	v_mul_f32_e32 v154, v20, v154                              // 000000021240: 0B353514
	v_mul_f32_e32 v155, v20, v155                              // 000000021244: 0B373714
	v_mul_f32_e32 v156, v20, v156                              // 000000021248: 0B393914
	v_mul_f32_e32 v157, v20, v157                              // 00000002124C: 0B3B3B14
	v_mul_f32_e32 v158, v20, v158                              // 000000021250: 0B3D3D14
	v_mul_f32_e32 v159, v20, v159                              // 000000021254: 0B3F3F14
	v_mul_f32_dpp v144, v248, v144 quad_perm:[0,0,0,0] row_mask:0xf bank_mask:0xf// 000000021258: 0B2120FA FF0000F8
	v_mul_f32_dpp v145, v248, v145 quad_perm:[1,1,1,1] row_mask:0xf bank_mask:0xf// 000000021260: 0B2322FA FF0055F8
	v_mul_f32_dpp v146, v248, v146 quad_perm:[2,2,2,2] row_mask:0xf bank_mask:0xf// 000000021268: 0B2524FA FF00AAF8
	v_mul_f32_dpp v147, v248, v147 quad_perm:[3,3,3,3] row_mask:0xf bank_mask:0xf// 000000021270: 0B2726FA FF00FFF8
	v_mul_f32_dpp v148, v249, v148 quad_perm:[0,0,0,0] row_mask:0xf bank_mask:0xf// 000000021278: 0B2928FA FF0000F9
	v_mul_f32_dpp v149, v249, v149 quad_perm:[1,1,1,1] row_mask:0xf bank_mask:0xf// 000000021280: 0B2B2AFA FF0055F9
	v_mul_f32_dpp v150, v249, v150 quad_perm:[2,2,2,2] row_mask:0xf bank_mask:0xf// 000000021288: 0B2D2CFA FF00AAF9
	v_mul_f32_dpp v151, v249, v151 quad_perm:[3,3,3,3] row_mask:0xf bank_mask:0xf// 000000021290: 0B2F2EFA FF00FFF9
	v_mul_f32_dpp v152, v250, v152 quad_perm:[0,0,0,0] row_mask:0xf bank_mask:0xf// 000000021298: 0B3130FA FF0000FA
	v_mul_f32_dpp v153, v250, v153 quad_perm:[1,1,1,1] row_mask:0xf bank_mask:0xf// 0000000212A0: 0B3332FA FF0055FA
	v_mul_f32_dpp v154, v250, v154 quad_perm:[2,2,2,2] row_mask:0xf bank_mask:0xf// 0000000212A8: 0B3534FA FF00AAFA
	v_mul_f32_dpp v155, v250, v155 quad_perm:[3,3,3,3] row_mask:0xf bank_mask:0xf// 0000000212B0: 0B3736FA FF00FFFA
	v_mul_f32_dpp v156, v251, v156 quad_perm:[0,0,0,0] row_mask:0xf bank_mask:0xf// 0000000212B8: 0B3938FA FF0000FB
	v_mul_f32_dpp v157, v251, v157 quad_perm:[1,1,1,1] row_mask:0xf bank_mask:0xf// 0000000212C0: 0B3B3AFA FF0055FB
	v_mul_f32_dpp v158, v251, v158 quad_perm:[2,2,2,2] row_mask:0xf bank_mask:0xf// 0000000212C8: 0B3D3CFA FF00AAFB
	v_mul_f32_dpp v159, v251, v159 quad_perm:[3,3,3,3] row_mask:0xf bank_mask:0xf// 0000000212D0: 0B3F3EFA FF00FFFB
	v_mov_b32_e32 v48, v144                                    // 0000000212D8: 7E600390
	v_max3_f32 v48, v144, v145, v48                            // 0000000212DC: D1D30030 04C32390
	v_max3_f32 v48, v146, v147, v48                            // 0000000212E4: D1D30030 04C32792
	v_max3_f32 v48, v148, v149, v48                            // 0000000212EC: D1D30030 04C32B94
	v_max3_f32 v48, v150, v151, v48                            // 0000000212F4: D1D30030 04C32F96
	v_max3_f32 v48, v152, v153, v48                            // 0000000212FC: D1D30030 04C33398
	v_max3_f32 v48, v154, v155, v48                            // 000000021304: D1D30030 04C3379A
	v_max3_f32 v48, v156, v157, v48                            // 00000002130C: D1D30030 04C33B9C
	v_max3_f32 v48, v158, v159, v48                            // 000000021314: D1D30030 04C33F9E
	ds_write_b32 v8, v48 offset:16896                          // 00000002131C: D81A4200 00003008
	v_mul_f32_e32 v224, v51, v224                              // 000000021324: 0BC1C133
	v_mul_f32_e32 v225, v51, v225                              // 000000021328: 0BC3C333
	v_mul_f32_e32 v226, v51, v226                              // 00000002132C: 0BC5C533
	v_mul_f32_e32 v227, v51, v227                              // 000000021330: 0BC7C733
	v_mul_f32_e32 v228, v51, v228                              // 000000021334: 0BC9C933
	v_mul_f32_e32 v229, v51, v229                              // 000000021338: 0BCBCB33
	v_mul_f32_e32 v230, v51, v230                              // 00000002133C: 0BCDCD33
	v_mul_f32_e32 v231, v51, v231                              // 000000021340: 0BCFCF33
	s_waitcnt lgkmcnt(0)                                       // 000000021344: BF8CC07F
	s_barrier                                                  // 000000021348: BF8A0000
	ds_read_b32 v64, v7 offset:16896                           // 00000002134C: D86C4200 40000007
	ds_read_b32 v65, v7 offset:16960                           // 000000021354: D86C4240 41000007
	ds_read_b32 v66, v7 offset:17024                           // 00000002135C: D86C4280 42000007
	ds_read_b32 v67, v7 offset:17088                           // 000000021364: D86C42C0 43000007
	ds_read_b32 v68, v7 offset:17152                           // 00000002136C: D86C4300 44000007
	ds_read_b32 v69, v7 offset:17216                           // 000000021374: D86C4340 45000007
	ds_read_b32 v70, v7 offset:17280                           // 00000002137C: D86C4380 46000007
	ds_read_b32 v71, v7 offset:17344                           // 000000021384: D86C43C0 47000007
	ds_read_b32 v72, v7 offset:17408                           // 00000002138C: D86C4400 48000007
	ds_read_b32 v73, v7 offset:17472                           // 000000021394: D86C4440 49000007
	ds_read_b32 v74, v7 offset:17536                           // 00000002139C: D86C4480 4A000007
	ds_read_b32 v75, v7 offset:17600                           // 0000000213A4: D86C44C0 4B000007
	ds_read_b32 v76, v7 offset:17664                           // 0000000213AC: D86C4500 4C000007
	ds_read_b32 v77, v7 offset:17728                           // 0000000213B4: D86C4540 4D000007
	ds_read_b32 v78, v7 offset:17792                           // 0000000213BC: D86C4580 4E000007
	ds_read_b32 v79, v7 offset:17856                           // 0000000213C4: D86C45C0 4F000007
	v_mul_f32_e32 v192, v46, v192                              // 0000000213CC: 0B81812E
	v_mul_f32_e32 v193, v46, v193                              // 0000000213D0: 0B83832E
	v_mul_f32_e32 v194, v46, v194                              // 0000000213D4: 0B85852E
	v_mul_f32_e32 v195, v46, v195                              // 0000000213D8: 0B87872E
	v_mul_f32_e32 v196, v46, v196                              // 0000000213DC: 0B89892E
	v_mul_f32_e32 v197, v46, v197                              // 0000000213E0: 0B8B8B2E
	v_mul_f32_e32 v198, v46, v198                              // 0000000213E4: 0B8D8D2E
	v_mul_f32_e32 v199, v46, v199                              // 0000000213E8: 0B8F8F2E
	s_waitcnt lgkmcnt(0)                                       // 0000000213EC: BF8CC07F
	v_max3_f32 v48, v64, v65, v48                              // 0000000213F0: D1D30030 04C28340
	v_max3_f32 v48, v66, v67, v48                              // 0000000213F8: D1D30030 04C28742
	v_max3_f32 v48, v68, v69, v48                              // 000000021400: D1D30030 04C28B44
	v_max3_f32 v48, v70, v71, v48                              // 000000021408: D1D30030 04C28F46
	v_max3_f32 v48, v72, v73, v48                              // 000000021410: D1D30030 04C29348
	v_max3_f32 v48, v74, v75, v48                              // 000000021418: D1D30030 04C2974A
	v_max3_f32 v48, v76, v77, v48                              // 000000021420: D1D30030 04C29B4C
	v_max3_f32 v48, v78, v79, v48                              // 000000021428: D1D30030 04C29F4E
	v_mov_b32_e32 v64, 0xff800000                              // 000000021430: 7E8002FF FF800000
	v_cmp_eq_u32_e64 s[40:41], v64, v13                        // 000000021438: D0CA0028 00021B40
	s_nop 1                                                    // 000000021440: BF800001
	v_max_f32_e32 v15, v48, v13                                // 000000021444: 161E1B30
	v_mul_f32_e32 v53, s64, v15                                // 000000021448: 0A6A1E40
	v_fma_f32 v144, v144, s64, -v53                            // 00000002144C: D1CB0090 84D48190
	v_fma_f32 v145, v145, s64, -v53                            // 000000021454: D1CB0091 84D48191
	v_fma_f32 v146, v146, s64, -v53                            // 00000002145C: D1CB0092 84D48192
	v_fma_f32 v147, v147, s64, -v53                            // 000000021464: D1CB0093 84D48193
	v_fma_f32 v148, v148, s64, -v53                            // 00000002146C: D1CB0094 84D48194
	v_fma_f32 v149, v149, s64, -v53                            // 000000021474: D1CB0095 84D48195
	v_fma_f32 v150, v150, s64, -v53                            // 00000002147C: D1CB0096 84D48196
	v_fma_f32 v151, v151, s64, -v53                            // 000000021484: D1CB0097 84D48197
	v_fma_f32 v152, v152, s64, -v53                            // 00000002148C: D1CB0098 84D48198
	v_fma_f32 v153, v153, s64, -v53                            // 000000021494: D1CB0099 84D48199
	v_fma_f32 v154, v154, s64, -v53                            // 00000002149C: D1CB009A 84D4819A
	v_fma_f32 v155, v155, s64, -v53                            // 0000000214A4: D1CB009B 84D4819B
	v_fma_f32 v156, v156, s64, -v53                            // 0000000214AC: D1CB009C 84D4819C
	v_fma_f32 v157, v157, s64, -v53                            // 0000000214B4: D1CB009D 84D4819D
	v_fma_f32 v158, v158, s64, -v53                            // 0000000214BC: D1CB009E 84D4819E
	v_fma_f32 v159, v159, s64, -v53                            // 0000000214C4: D1CB009F 84D4819F
	v_exp_f32_e32 v144, v144                                   // 0000000214CC: 7F204190
	v_exp_f32_e32 v145, v145                                   // 0000000214D0: 7F224191
	v_exp_f32_e32 v146, v146                                   // 0000000214D4: 7F244192
	v_exp_f32_e32 v147, v147                                   // 0000000214D8: 7F264193
	v_exp_f32_e32 v148, v148                                   // 0000000214DC: 7F284194
	v_exp_f32_e32 v149, v149                                   // 0000000214E0: 7F2A4195
	v_exp_f32_e32 v150, v150                                   // 0000000214E4: 7F2C4196
	v_exp_f32_e32 v151, v151                                   // 0000000214E8: 7F2E4197
	v_exp_f32_e32 v152, v152                                   // 0000000214EC: 7F304198
	v_exp_f32_e32 v153, v153                                   // 0000000214F0: 7F324199
	v_exp_f32_e32 v154, v154                                   // 0000000214F4: 7F34419A
	v_exp_f32_e32 v155, v155                                   // 0000000214F8: 7F36419B
	v_exp_f32_e32 v156, v156                                   // 0000000214FC: 7F38419C
	v_exp_f32_e32 v157, v157                                   // 000000021500: 7F3A419D
	v_exp_f32_e32 v158, v158                                   // 000000021504: 7F3C419E
	v_exp_f32_e32 v159, v159                                   // 000000021508: 7F3E419F
	v_mul_f32_dpp v240, v252, v144 quad_perm:[0,0,0,0] row_mask:0xf bank_mask:0xf// 00000002150C: 0BE120FA FF0000FC
	v_mul_f32_dpp v241, v252, v145 quad_perm:[1,1,1,1] row_mask:0xf bank_mask:0xf// 000000021514: 0BE322FA FF0055FC
	v_mul_f32_dpp v242, v252, v146 quad_perm:[2,2,2,2] row_mask:0xf bank_mask:0xf// 00000002151C: 0BE524FA FF00AAFC
	v_mul_f32_dpp v243, v252, v147 quad_perm:[3,3,3,3] row_mask:0xf bank_mask:0xf// 000000021524: 0BE726FA FF00FFFC
	v_mul_f32_dpp v244, v253, v148 quad_perm:[0,0,0,0] row_mask:0xf bank_mask:0xf// 00000002152C: 0BE928FA FF0000FD
	v_mul_f32_dpp v245, v253, v149 quad_perm:[1,1,1,1] row_mask:0xf bank_mask:0xf// 000000021534: 0BEB2AFA FF0055FD
	v_mul_f32_dpp v246, v253, v150 quad_perm:[2,2,2,2] row_mask:0xf bank_mask:0xf// 00000002153C: 0BED2CFA FF00AAFD
	v_mul_f32_dpp v247, v253, v151 quad_perm:[3,3,3,3] row_mask:0xf bank_mask:0xf// 000000021544: 0BEF2EFA FF00FFFD
	v_mul_f32_dpp v248, v254, v152 quad_perm:[0,0,0,0] row_mask:0xf bank_mask:0xf// 00000002154C: 0BF130FA FF0000FE
	v_mul_f32_dpp v249, v254, v153 quad_perm:[1,1,1,1] row_mask:0xf bank_mask:0xf// 000000021554: 0BF332FA FF0055FE
	v_mul_f32_dpp v250, v254, v154 quad_perm:[2,2,2,2] row_mask:0xf bank_mask:0xf// 00000002155C: 0BF534FA FF00AAFE
	v_mul_f32_dpp v251, v254, v155 quad_perm:[3,3,3,3] row_mask:0xf bank_mask:0xf// 000000021564: 0BF736FA FF00FFFE
	v_mul_f32_dpp v252, v255, v156 quad_perm:[0,0,0,0] row_mask:0xf bank_mask:0xf// 00000002156C: 0BF938FA FF0000FF
	v_mul_f32_dpp v253, v255, v157 quad_perm:[1,1,1,1] row_mask:0xf bank_mask:0xf// 000000021574: 0BFB3AFA FF0055FF
	v_mul_f32_dpp v254, v255, v158 quad_perm:[2,2,2,2] row_mask:0xf bank_mask:0xf// 00000002157C: 0BFD3CFA FF00AAFF
	v_mul_f32_dpp v255, v255, v159 quad_perm:[3,3,3,3] row_mask:0xf bank_mask:0xf// 000000021584: 0BFF3EFA FF00FFFF
	v_mov_b32_e32 v48, 0x358637bd                              // 00000002158C: 7E6002FF 358637BD
	v_max3_f32 v48, |v240|, |v241|, v48                        // 000000021594: D1D30330 04C3E3F0
	v_max3_f32 v48, |v242|, |v243|, v48                        // 00000002159C: D1D30330 04C3E7F2
	v_max3_f32 v48, |v244|, |v245|, v48                        // 0000000215A4: D1D30330 04C3EBF4
	v_max3_f32 v48, |v246|, |v247|, v48                        // 0000000215AC: D1D30330 04C3EFF6
	v_max3_f32 v48, |v248|, |v249|, v48                        // 0000000215B4: D1D30330 04C3F3F8
	v_max3_f32 v48, |v250|, |v251|, v48                        // 0000000215BC: D1D30330 04C3F7FA
	v_max3_f32 v48, |v252|, |v253|, v48                        // 0000000215C4: D1D30330 04C3FBFC
	v_max3_f32 v48, |v254|, |v255|, v48                        // 0000000215CC: D1D30330 04C3FFFE
	ds_write_b32 v8, v48 offset:20992                          // 0000000215D4: D81A5200 00003008
	v_sub_f32_e32 v51, v13, v15                                // 0000000215DC: 04661F0D
	v_cndmask_b32_e64 v51, v51, 0, s[40:41]                    // 0000000215E0: D1000033 00A10133
	v_mov_b32_e32 v13, v15                                     // 0000000215E8: 7E1A030F
	v_mul_f32_e32 v51, s64, v51                                // 0000000215EC: 0A666640
	v_exp_f32_e32 v51, v51                                     // 0000000215F0: 7E664133
	s_waitcnt lgkmcnt(0)                                       // 0000000215F4: BF8CC07F
	s_barrier                                                  // 0000000215F8: BF8A0000
	ds_read_b32 v64, v7 offset:20992                           // 0000000215FC: D86C5200 40000007
	ds_read_b32 v65, v7 offset:21056                           // 000000021604: D86C5240 41000007
	ds_read_b32 v66, v7 offset:21120                           // 00000002160C: D86C5280 42000007
	ds_read_b32 v67, v7 offset:21184                           // 000000021614: D86C52C0 43000007
	ds_read_b32 v68, v7 offset:21248                           // 00000002161C: D86C5300 44000007
	ds_read_b32 v69, v7 offset:21312                           // 000000021624: D86C5340 45000007
	ds_read_b32 v70, v7 offset:21376                           // 00000002162C: D86C5380 46000007
	ds_read_b32 v71, v7 offset:21440                           // 000000021634: D86C53C0 47000007
	ds_read_b32 v72, v7 offset:21504                           // 00000002163C: D86C5400 48000007
	ds_read_b32 v73, v7 offset:21568                           // 000000021644: D86C5440 49000007
	ds_read_b32 v74, v7 offset:21632                           // 00000002164C: D86C5480 4A000007
	ds_read_b32 v75, v7 offset:21696                           // 000000021654: D86C54C0 4B000007
	ds_read_b32 v76, v7 offset:21760                           // 00000002165C: D86C5500 4C000007
	ds_read_b32 v77, v7 offset:21824                           // 000000021664: D86C5540 4D000007
	ds_read_b32 v78, v7 offset:21888                           // 00000002166C: D86C5580 4E000007
	ds_read_b32 v79, v7 offset:21952                           // 000000021674: D86C55C0 4F000007
	v_mul_f32_e32 v40, v51, v40                                // 00000002167C: 0A505133
	v_mov_b32_e32 v15, v144                                    // 000000021680: 7E1E0390
	v_add_f32_e32 v15, v145, v15                               // 000000021684: 021E1F91
	v_add_f32_e32 v15, v146, v15                               // 000000021688: 021E1F92
	v_add_f32_e32 v15, v147, v15                               // 00000002168C: 021E1F93
	v_add_f32_e32 v15, v148, v15                               // 000000021690: 021E1F94
	v_add_f32_e32 v15, v149, v15                               // 000000021694: 021E1F95
	v_add_f32_e32 v15, v150, v15                               // 000000021698: 021E1F96
	v_add_f32_e32 v15, v151, v15                               // 00000002169C: 021E1F97
	v_add_f32_e32 v15, v152, v15                               // 0000000216A0: 021E1F98
	v_add_f32_e32 v15, v153, v15                               // 0000000216A4: 021E1F99
	v_add_f32_e32 v15, v154, v15                               // 0000000216A8: 021E1F9A
	v_add_f32_e32 v15, v155, v15                               // 0000000216AC: 021E1F9B
	v_add_f32_e32 v15, v156, v15                               // 0000000216B0: 021E1F9C
	v_add_f32_e32 v15, v157, v15                               // 0000000216B4: 021E1F9D
	v_add_f32_e32 v15, v158, v15                               // 0000000216B8: 021E1F9E
	v_add_f32_e32 v15, v159, v15                               // 0000000216BC: 021E1F9F
	v_add_f32_e32 v40, v15, v40                                // 0000000216C0: 0250510F
	s_waitcnt lgkmcnt(0)                                       // 0000000216C4: BF8CC07F
	v_max3_f32 v48, |v64|, |v65|, v48                          // 0000000216C8: D1D30330 04C28340
	v_max3_f32 v48, |v66|, |v67|, v48                          // 0000000216D0: D1D30330 04C28742
	v_max3_f32 v48, |v68|, |v69|, v48                          // 0000000216D8: D1D30330 04C28B44
	v_max3_f32 v48, |v70|, |v71|, v48                          // 0000000216E0: D1D30330 04C28F46
	v_max3_f32 v48, |v72|, |v73|, v48                          // 0000000216E8: D1D30330 04C29348
	v_max3_f32 v48, |v74|, |v75|, v48                          // 0000000216F0: D1D30330 04C2974A
	v_max3_f32 v48, |v76|, |v77|, v48                          // 0000000216F8: D1D30330 04C29B4C
	v_max3_f32 v48, |v78|, |v79|, v48                          // 000000021700: D1D30330 04C29F4E
	s_nop 2                                                    // 000000021708: BF800002
	v_rcp_f32_e32 v48, v48                                     // 00000002170C: 7E604530
	s_nop 1                                                    // 000000021710: BF800001
	v_mul_f32_e32 v48, 0x43e00000, v48                         // 000000021714: 0A6060FF 43E00000
	v_mul_f32_e32 v144, v48, v240                              // 00000002171C: 0B21E130
	v_mul_f32_e32 v145, v48, v241                              // 000000021720: 0B23E330
	v_mul_f32_e32 v146, v48, v242                              // 000000021724: 0B25E530
	v_mul_f32_e32 v147, v48, v243                              // 000000021728: 0B27E730
	v_mul_f32_e32 v148, v48, v244                              // 00000002172C: 0B29E930
	v_mul_f32_e32 v149, v48, v245                              // 000000021730: 0B2BEB30
	v_mul_f32_e32 v150, v48, v246                              // 000000021734: 0B2DED30
	v_mul_f32_e32 v151, v48, v247                              // 000000021738: 0B2FEF30
	v_mul_f32_e32 v152, v48, v248                              // 00000002173C: 0B31F130
	v_mul_f32_e32 v153, v48, v249                              // 000000021740: 0B33F330
	v_mul_f32_e32 v154, v48, v250                              // 000000021744: 0B35F530
	v_mul_f32_e32 v155, v48, v251                              // 000000021748: 0B37F730
	v_mul_f32_e32 v156, v48, v252                              // 00000002174C: 0B39F930
	v_mul_f32_e32 v157, v48, v253                              // 000000021750: 0B3BFB30
	v_mul_f32_e32 v158, v48, v254                              // 000000021754: 0B3DFD30
	v_mul_f32_e32 v159, v48, v255                              // 000000021758: 0B3FFF30
	v_cvt_pk_fp8_f32 v144, v144, v145                          // 00000002175C: D2A20090 00032390
	v_cvt_pk_fp8_f32 v144, v146, v147 op_sel:[0,0,1]           // 000000021764: D2A24090 00032792
	v_cvt_pk_fp8_f32 v145, v148, v149                          // 00000002176C: D2A20091 00032B94
	v_cvt_pk_fp8_f32 v145, v150, v151 op_sel:[0,0,1]           // 000000021774: D2A24091 00032F96
	v_cvt_pk_fp8_f32 v146, v152, v153                          // 00000002177C: D2A20092 00033398
	v_cvt_pk_fp8_f32 v146, v154, v155 op_sel:[0,0,1]           // 000000021784: D2A24092 0003379A
	v_cvt_pk_fp8_f32 v147, v156, v157                          // 00000002178C: D2A20093 00033B9C
	v_cvt_pk_fp8_f32 v147, v158, v159 op_sel:[0,0,1]           // 000000021794: D2A24093 00033F9E
	ds_write_b32 v10, v144 offset:33280                        // 00000002179C: D81A8200 0000900A
	ds_write_b32 v10, v145 offset:34304                        // 0000000217A4: D81A8600 0000910A
	ds_write_b32 v10, v146 offset:35328                        // 0000000217AC: D81A8A00 0000920A
	ds_write_b32 v10, v147 offset:36352                        // 0000000217B4: D81A8E00 0000930A
	v_add_f32_e32 v224, v224, v192                             // 0000000217BC: 03C181E0
	v_add_f32_e32 v225, v225, v193                             // 0000000217C0: 03C383E1
	v_add_f32_e32 v226, v226, v194                             // 0000000217C4: 03C585E2
	v_add_f32_e32 v227, v227, v195                             // 0000000217C8: 03C787E3
	v_add_f32_e32 v228, v228, v196                             // 0000000217CC: 03C989E4
	v_add_f32_e32 v229, v229, v197                             // 0000000217D0: 03CB8BE5
	v_add_f32_e32 v230, v230, v198                             // 0000000217D4: 03CD8DE6
	v_add_f32_e32 v231, v231, v199                             // 0000000217D8: 03CF8FE7
	v_rcp_f32_e32 v46, v48                                     // 0000000217DC: 7E5C4530
	s_waitcnt lgkmcnt(0)                                       // 0000000217E0: BF8CC07F
	s_barrier                                                  // 0000000217E4: BF8A0000
	ds_read_b64 v[144:145], v9 offset:33280                    // 0000000217E8: D8EC8200 90000009
	ds_read_b64 v[146:147], v9 offset:33408                    // 0000000217F0: D8EC8280 92000009
	ds_read_b64 v[148:149], v9 offset:34304                    // 0000000217F8: D8EC8600 94000009
	ds_read_b64 v[150:151], v9 offset:34432                    // 000000021800: D8EC8680 96000009
	ds_read_b64 v[152:153], v9 offset:35328                    // 000000021808: D8EC8A00 98000009
	ds_read_b64 v[154:155], v9 offset:35456                    // 000000021810: D8EC8A80 9A000009
	ds_read_b64 v[156:157], v9 offset:36352                    // 000000021818: D8EC8E00 9C000009
	ds_read_b64 v[158:159], v9 offset:36480                    // 000000021820: D8EC8E80 9E000009
	v_mov_b32_dpp v64, v43 row_shr:4 row_mask:0xf bank_mask:0xf// 000000021828: 7E8002FA FF01142B
	v_mov_b32_dpp v65, v43 row_shl:4 row_mask:0xf bank_mask:0xf// 000000021830: 7E8202FA FF01042B
	v_cndmask_b32_e64 v248, v43, v64, s[44:45]                 // 000000021838: D10000F8 00B2812B
	v_cndmask_b32_e64 v249, v65, v43, s[44:45]                 // 000000021840: D10000F9 00B25741
	v_mov_b32_dpp v64, v248 row_shr:8 row_mask:0xf bank_mask:0xf// 000000021848: 7E8002FA FF0118F8
	v_mov_b32_dpp v65, v248 row_shl:8 row_mask:0xf bank_mask:0xf// 000000021850: 7E8202FA FF0108F8
	v_mov_b32_dpp v66, v249 row_shr:8 row_mask:0xf bank_mask:0xf// 000000021858: 7E8402FA FF0118F9
	v_mov_b32_dpp v67, v249 row_shl:8 row_mask:0xf bank_mask:0xf// 000000021860: 7E8602FA FF0108F9
	v_mov_b32_e32 v68, v248                                    // 000000021868: 7E8803F8
	v_mov_b32_e32 v69, v249                                    // 00000002186C: 7E8A03F9
	v_cndmask_b32_e64 v248, v68, v64, s[42:43]                 // 000000021870: D10000F8 00AA8144
	v_cndmask_b32_e64 v250, v68, v65, s[78:79]                 // 000000021878: D10000FA 013A8344
	v_cndmask_b32_e64 v249, v69, v66, s[42:43]                 // 000000021880: D10000F9 00AA8545
	v_cndmask_b32_e64 v251, v69, v67, s[78:79]                 // 000000021888: D10000FB 013A8745
	v_mov_b32_dpp v64, v58 row_shr:4 row_mask:0xf bank_mask:0xf// 000000021890: 7E8002FA FF01143A
	v_mov_b32_dpp v65, v58 row_shl:4 row_mask:0xf bank_mask:0xf// 000000021898: 7E8202FA FF01043A
	v_cndmask_b32_e64 v252, v58, v64, s[44:45]                 // 0000000218A0: D10000FC 00B2813A
	v_cndmask_b32_e64 v253, v65, v58, s[44:45]                 // 0000000218A8: D10000FD 00B27541
	v_mov_b32_dpp v64, v252 row_shr:8 row_mask:0xf bank_mask:0xf// 0000000218B0: 7E8002FA FF0118FC
	v_mov_b32_dpp v65, v252 row_shl:8 row_mask:0xf bank_mask:0xf// 0000000218B8: 7E8202FA FF0108FC
	v_mov_b32_dpp v66, v253 row_shr:8 row_mask:0xf bank_mask:0xf// 0000000218C0: 7E8402FA FF0118FD
	v_mov_b32_dpp v67, v253 row_shl:8 row_mask:0xf bank_mask:0xf// 0000000218C8: 7E8602FA FF0108FD
	v_mov_b32_e32 v68, v252                                    // 0000000218D0: 7E8803FC
	v_mov_b32_e32 v69, v253                                    // 0000000218D4: 7E8A03FD
	v_cndmask_b32_e64 v252, v68, v64, s[42:43]                 // 0000000218D8: D10000FC 00AA8144
	v_cndmask_b32_e64 v254, v68, v65, s[78:79]                 // 0000000218E0: D10000FE 013A8344
	v_cndmask_b32_e64 v253, v69, v66, s[42:43]                 // 0000000218E8: D10000FD 00AA8545
	v_cndmask_b32_e64 v255, v69, v67, s[78:79]                 // 0000000218F0: D10000FF 013A8745
	v_mul_f32_e32 v160, v21, v160                              // 0000000218F8: 0B414115
	v_mul_f32_e32 v161, v21, v161                              // 0000000218FC: 0B434315
	v_mul_f32_e32 v162, v21, v162                              // 000000021900: 0B454515
	v_mul_f32_e32 v163, v21, v163                              // 000000021904: 0B474715
	v_mul_f32_e32 v164, v21, v164                              // 000000021908: 0B494915
	v_mul_f32_e32 v165, v21, v165                              // 00000002190C: 0B4B4B15
	v_mul_f32_e32 v166, v21, v166                              // 000000021910: 0B4D4D15
	v_mul_f32_e32 v167, v21, v167                              // 000000021914: 0B4F4F15
	v_mul_f32_e32 v168, v21, v168                              // 000000021918: 0B515115
	v_mul_f32_e32 v169, v21, v169                              // 00000002191C: 0B535315
	v_mul_f32_e32 v170, v21, v170                              // 000000021920: 0B555515
	v_mul_f32_e32 v171, v21, v171                              // 000000021924: 0B575715
	v_mul_f32_e32 v172, v21, v172                              // 000000021928: 0B595915
	v_mul_f32_e32 v173, v21, v173                              // 00000002192C: 0B5B5B15
	v_mul_f32_e32 v174, v21, v174                              // 000000021930: 0B5D5D15
	v_mul_f32_e32 v175, v21, v175                              // 000000021934: 0B5F5F15
	v_mul_f32_dpp v160, v248, v160 quad_perm:[0,0,0,0] row_mask:0xf bank_mask:0xf// 000000021938: 0B4140FA FF0000F8
	v_mul_f32_dpp v161, v248, v161 quad_perm:[1,1,1,1] row_mask:0xf bank_mask:0xf// 000000021940: 0B4342FA FF0055F8
	v_mul_f32_dpp v162, v248, v162 quad_perm:[2,2,2,2] row_mask:0xf bank_mask:0xf// 000000021948: 0B4544FA FF00AAF8
	v_mul_f32_dpp v163, v248, v163 quad_perm:[3,3,3,3] row_mask:0xf bank_mask:0xf// 000000021950: 0B4746FA FF00FFF8
	v_mul_f32_dpp v164, v249, v164 quad_perm:[0,0,0,0] row_mask:0xf bank_mask:0xf// 000000021958: 0B4948FA FF0000F9
	v_mul_f32_dpp v165, v249, v165 quad_perm:[1,1,1,1] row_mask:0xf bank_mask:0xf// 000000021960: 0B4B4AFA FF0055F9
	v_mul_f32_dpp v166, v249, v166 quad_perm:[2,2,2,2] row_mask:0xf bank_mask:0xf// 000000021968: 0B4D4CFA FF00AAF9
	v_mul_f32_dpp v167, v249, v167 quad_perm:[3,3,3,3] row_mask:0xf bank_mask:0xf// 000000021970: 0B4F4EFA FF00FFF9
	v_mul_f32_dpp v168, v250, v168 quad_perm:[0,0,0,0] row_mask:0xf bank_mask:0xf// 000000021978: 0B5150FA FF0000FA
	v_mul_f32_dpp v169, v250, v169 quad_perm:[1,1,1,1] row_mask:0xf bank_mask:0xf// 000000021980: 0B5352FA FF0055FA
	v_mul_f32_dpp v170, v250, v170 quad_perm:[2,2,2,2] row_mask:0xf bank_mask:0xf// 000000021988: 0B5554FA FF00AAFA
	v_mul_f32_dpp v171, v250, v171 quad_perm:[3,3,3,3] row_mask:0xf bank_mask:0xf// 000000021990: 0B5756FA FF00FFFA
	v_mul_f32_dpp v172, v251, v172 quad_perm:[0,0,0,0] row_mask:0xf bank_mask:0xf// 000000021998: 0B5958FA FF0000FB
	v_mul_f32_dpp v173, v251, v173 quad_perm:[1,1,1,1] row_mask:0xf bank_mask:0xf// 0000000219A0: 0B5B5AFA FF0055FB
	v_mul_f32_dpp v174, v251, v174 quad_perm:[2,2,2,2] row_mask:0xf bank_mask:0xf// 0000000219A8: 0B5D5CFA FF00AAFB
	v_mul_f32_dpp v175, v251, v175 quad_perm:[3,3,3,3] row_mask:0xf bank_mask:0xf// 0000000219B0: 0B5F5EFA FF00FFFB
	v_mov_b32_e32 v48, v160                                    // 0000000219B8: 7E6003A0
	v_max3_f32 v48, v160, v161, v48                            // 0000000219BC: D1D30030 04C343A0
	v_max3_f32 v48, v162, v163, v48                            // 0000000219C4: D1D30030 04C347A2
	v_max3_f32 v48, v164, v165, v48                            // 0000000219CC: D1D30030 04C34BA4
	v_max3_f32 v48, v166, v167, v48                            // 0000000219D4: D1D30030 04C34FA6
	v_max3_f32 v48, v168, v169, v48                            // 0000000219DC: D1D30030 04C353A8
	v_max3_f32 v48, v170, v171, v48                            // 0000000219E4: D1D30030 04C357AA
	v_max3_f32 v48, v172, v173, v48                            // 0000000219EC: D1D30030 04C35BAC
	v_max3_f32 v48, v174, v175, v48                            // 0000000219F4: D1D30030 04C35FAE
	ds_write_b32 v8, v48 offset:16896                          // 0000000219FC: D81A4200 00003008
	v_mul_f32_e32 v232, v52, v232                              // 000000021A04: 0BD1D134
	v_mul_f32_e32 v233, v52, v233                              // 000000021A08: 0BD3D334
	v_mul_f32_e32 v234, v52, v234                              // 000000021A0C: 0BD5D534
	v_mul_f32_e32 v235, v52, v235                              // 000000021A10: 0BD7D734
	v_mul_f32_e32 v236, v52, v236                              // 000000021A14: 0BD9D934
	v_mul_f32_e32 v237, v52, v237                              // 000000021A18: 0BDBDB34
	v_mul_f32_e32 v238, v52, v238                              // 000000021A1C: 0BDDDD34
	v_mul_f32_e32 v239, v52, v239                              // 000000021A20: 0BDFDF34
	s_waitcnt lgkmcnt(0)                                       // 000000021A24: BF8CC07F
	s_barrier                                                  // 000000021A28: BF8A0000
	ds_read_b32 v64, v7 offset:16896                           // 000000021A2C: D86C4200 40000007
	ds_read_b32 v65, v7 offset:16960                           // 000000021A34: D86C4240 41000007
	ds_read_b32 v66, v7 offset:17024                           // 000000021A3C: D86C4280 42000007
	ds_read_b32 v67, v7 offset:17088                           // 000000021A44: D86C42C0 43000007
	ds_read_b32 v68, v7 offset:17152                           // 000000021A4C: D86C4300 44000007
	ds_read_b32 v69, v7 offset:17216                           // 000000021A54: D86C4340 45000007
	ds_read_b32 v70, v7 offset:17280                           // 000000021A5C: D86C4380 46000007
	ds_read_b32 v71, v7 offset:17344                           // 000000021A64: D86C43C0 47000007
	ds_read_b32 v72, v7 offset:17408                           // 000000021A6C: D86C4400 48000007
	ds_read_b32 v73, v7 offset:17472                           // 000000021A74: D86C4440 49000007
	ds_read_b32 v74, v7 offset:17536                           // 000000021A7C: D86C4480 4A000007
	ds_read_b32 v75, v7 offset:17600                           // 000000021A84: D86C44C0 4B000007
	ds_read_b32 v76, v7 offset:17664                           // 000000021A8C: D86C4500 4C000007
	ds_read_b32 v77, v7 offset:17728                           // 000000021A94: D86C4540 4D000007
	ds_read_b32 v78, v7 offset:17792                           // 000000021A9C: D86C4580 4E000007
	ds_read_b32 v79, v7 offset:17856                           // 000000021AA4: D86C45C0 4F000007
	v_mul_f32_e32 v200, v47, v200                              // 000000021AAC: 0B91912F
	v_mul_f32_e32 v201, v47, v201                              // 000000021AB0: 0B93932F
	v_mul_f32_e32 v202, v47, v202                              // 000000021AB4: 0B95952F
	v_mul_f32_e32 v203, v47, v203                              // 000000021AB8: 0B97972F
	v_mul_f32_e32 v204, v47, v204                              // 000000021ABC: 0B99992F
	v_mul_f32_e32 v205, v47, v205                              // 000000021AC0: 0B9B9B2F
	v_mul_f32_e32 v206, v47, v206                              // 000000021AC4: 0B9D9D2F
	v_mul_f32_e32 v207, v47, v207                              // 000000021AC8: 0B9F9F2F
	s_waitcnt lgkmcnt(0)                                       // 000000021ACC: BF8CC07F
	v_max3_f32 v48, v64, v65, v48                              // 000000021AD0: D1D30030 04C28340
	v_max3_f32 v48, v66, v67, v48                              // 000000021AD8: D1D30030 04C28742
	v_max3_f32 v48, v68, v69, v48                              // 000000021AE0: D1D30030 04C28B44
	v_max3_f32 v48, v70, v71, v48                              // 000000021AE8: D1D30030 04C28F46
	v_max3_f32 v48, v72, v73, v48                              // 000000021AF0: D1D30030 04C29348
	v_max3_f32 v48, v74, v75, v48                              // 000000021AF8: D1D30030 04C2974A
	v_max3_f32 v48, v76, v77, v48                              // 000000021B00: D1D30030 04C29B4C
	v_max3_f32 v48, v78, v79, v48                              // 000000021B08: D1D30030 04C29F4E
	v_mov_b32_e32 v64, 0xff800000                              // 000000021B10: 7E8002FF FF800000
	v_cmp_eq_u32_e64 s[40:41], v64, v14                        // 000000021B18: D0CA0028 00021D40
	s_nop 1                                                    // 000000021B20: BF800001
	v_max_f32_e32 v15, v48, v14                                // 000000021B24: 161E1D30
	v_mul_f32_e32 v53, s64, v15                                // 000000021B28: 0A6A1E40
	v_fma_f32 v160, v160, s64, -v53                            // 000000021B2C: D1CB00A0 84D481A0
	v_fma_f32 v161, v161, s64, -v53                            // 000000021B34: D1CB00A1 84D481A1
	v_fma_f32 v162, v162, s64, -v53                            // 000000021B3C: D1CB00A2 84D481A2
	v_fma_f32 v163, v163, s64, -v53                            // 000000021B44: D1CB00A3 84D481A3
	v_fma_f32 v164, v164, s64, -v53                            // 000000021B4C: D1CB00A4 84D481A4
	v_fma_f32 v165, v165, s64, -v53                            // 000000021B54: D1CB00A5 84D481A5
	v_fma_f32 v166, v166, s64, -v53                            // 000000021B5C: D1CB00A6 84D481A6
	v_fma_f32 v167, v167, s64, -v53                            // 000000021B64: D1CB00A7 84D481A7
	v_fma_f32 v168, v168, s64, -v53                            // 000000021B6C: D1CB00A8 84D481A8
	v_fma_f32 v169, v169, s64, -v53                            // 000000021B74: D1CB00A9 84D481A9
	v_fma_f32 v170, v170, s64, -v53                            // 000000021B7C: D1CB00AA 84D481AA
	v_fma_f32 v171, v171, s64, -v53                            // 000000021B84: D1CB00AB 84D481AB
	v_fma_f32 v172, v172, s64, -v53                            // 000000021B8C: D1CB00AC 84D481AC
	v_fma_f32 v173, v173, s64, -v53                            // 000000021B94: D1CB00AD 84D481AD
	v_fma_f32 v174, v174, s64, -v53                            // 000000021B9C: D1CB00AE 84D481AE
	v_fma_f32 v175, v175, s64, -v53                            // 000000021BA4: D1CB00AF 84D481AF
	v_exp_f32_e32 v160, v160                                   // 000000021BAC: 7F4041A0
	v_exp_f32_e32 v161, v161                                   // 000000021BB0: 7F4241A1
	v_exp_f32_e32 v162, v162                                   // 000000021BB4: 7F4441A2
	v_exp_f32_e32 v163, v163                                   // 000000021BB8: 7F4641A3
	v_exp_f32_e32 v164, v164                                   // 000000021BBC: 7F4841A4
	v_exp_f32_e32 v165, v165                                   // 000000021BC0: 7F4A41A5
	v_exp_f32_e32 v166, v166                                   // 000000021BC4: 7F4C41A6
	v_exp_f32_e32 v167, v167                                   // 000000021BC8: 7F4E41A7
	v_exp_f32_e32 v168, v168                                   // 000000021BCC: 7F5041A8
	v_exp_f32_e32 v169, v169                                   // 000000021BD0: 7F5241A9
	v_exp_f32_e32 v170, v170                                   // 000000021BD4: 7F5441AA
	v_exp_f32_e32 v171, v171                                   // 000000021BD8: 7F5641AB
	v_exp_f32_e32 v172, v172                                   // 000000021BDC: 7F5841AC
	v_exp_f32_e32 v173, v173                                   // 000000021BE0: 7F5A41AD
	v_exp_f32_e32 v174, v174                                   // 000000021BE4: 7F5C41AE
	v_exp_f32_e32 v175, v175                                   // 000000021BE8: 7F5E41AF
	v_mul_f32_dpp v240, v252, v160 quad_perm:[0,0,0,0] row_mask:0xf bank_mask:0xf// 000000021BEC: 0BE140FA FF0000FC
	v_mul_f32_dpp v241, v252, v161 quad_perm:[1,1,1,1] row_mask:0xf bank_mask:0xf// 000000021BF4: 0BE342FA FF0055FC
	v_mul_f32_dpp v242, v252, v162 quad_perm:[2,2,2,2] row_mask:0xf bank_mask:0xf// 000000021BFC: 0BE544FA FF00AAFC
	v_mul_f32_dpp v243, v252, v163 quad_perm:[3,3,3,3] row_mask:0xf bank_mask:0xf// 000000021C04: 0BE746FA FF00FFFC
	v_mul_f32_dpp v244, v253, v164 quad_perm:[0,0,0,0] row_mask:0xf bank_mask:0xf// 000000021C0C: 0BE948FA FF0000FD
	v_mul_f32_dpp v245, v253, v165 quad_perm:[1,1,1,1] row_mask:0xf bank_mask:0xf// 000000021C14: 0BEB4AFA FF0055FD
	v_mul_f32_dpp v246, v253, v166 quad_perm:[2,2,2,2] row_mask:0xf bank_mask:0xf// 000000021C1C: 0BED4CFA FF00AAFD
	v_mul_f32_dpp v247, v253, v167 quad_perm:[3,3,3,3] row_mask:0xf bank_mask:0xf// 000000021C24: 0BEF4EFA FF00FFFD
	v_mul_f32_dpp v248, v254, v168 quad_perm:[0,0,0,0] row_mask:0xf bank_mask:0xf// 000000021C2C: 0BF150FA FF0000FE
	v_mul_f32_dpp v249, v254, v169 quad_perm:[1,1,1,1] row_mask:0xf bank_mask:0xf// 000000021C34: 0BF352FA FF0055FE
	v_mul_f32_dpp v250, v254, v170 quad_perm:[2,2,2,2] row_mask:0xf bank_mask:0xf// 000000021C3C: 0BF554FA FF00AAFE
	v_mul_f32_dpp v251, v254, v171 quad_perm:[3,3,3,3] row_mask:0xf bank_mask:0xf// 000000021C44: 0BF756FA FF00FFFE
	v_mul_f32_dpp v252, v255, v172 quad_perm:[0,0,0,0] row_mask:0xf bank_mask:0xf// 000000021C4C: 0BF958FA FF0000FF
	v_mul_f32_dpp v253, v255, v173 quad_perm:[1,1,1,1] row_mask:0xf bank_mask:0xf// 000000021C54: 0BFB5AFA FF0055FF
	v_mul_f32_dpp v254, v255, v174 quad_perm:[2,2,2,2] row_mask:0xf bank_mask:0xf// 000000021C5C: 0BFD5CFA FF00AAFF
	v_mul_f32_dpp v255, v255, v175 quad_perm:[3,3,3,3] row_mask:0xf bank_mask:0xf// 000000021C64: 0BFF5EFA FF00FFFF
	v_mov_b32_e32 v48, 0x358637bd                              // 000000021C6C: 7E6002FF 358637BD
	v_max3_f32 v48, |v240|, |v241|, v48                        // 000000021C74: D1D30330 04C3E3F0
	v_max3_f32 v48, |v242|, |v243|, v48                        // 000000021C7C: D1D30330 04C3E7F2
	v_max3_f32 v48, |v244|, |v245|, v48                        // 000000021C84: D1D30330 04C3EBF4
	v_max3_f32 v48, |v246|, |v247|, v48                        // 000000021C8C: D1D30330 04C3EFF6
	v_max3_f32 v48, |v248|, |v249|, v48                        // 000000021C94: D1D30330 04C3F3F8
	v_max3_f32 v48, |v250|, |v251|, v48                        // 000000021C9C: D1D30330 04C3F7FA
	v_max3_f32 v48, |v252|, |v253|, v48                        // 000000021CA4: D1D30330 04C3FBFC
	v_max3_f32 v48, |v254|, |v255|, v48                        // 000000021CAC: D1D30330 04C3FFFE
	ds_write_b32 v8, v48 offset:20992                          // 000000021CB4: D81A5200 00003008
	v_sub_f32_e32 v52, v14, v15                                // 000000021CBC: 04681F0E
	v_cndmask_b32_e64 v52, v52, 0, s[40:41]                    // 000000021CC0: D1000034 00A10134
	v_mov_b32_e32 v14, v15                                     // 000000021CC8: 7E1C030F
	v_mul_f32_e32 v52, s64, v52                                // 000000021CCC: 0A686840
	v_exp_f32_e32 v52, v52                                     // 000000021CD0: 7E684134
	s_waitcnt lgkmcnt(0)                                       // 000000021CD4: BF8CC07F
	s_barrier                                                  // 000000021CD8: BF8A0000
	ds_read_b32 v64, v7 offset:20992                           // 000000021CDC: D86C5200 40000007
	ds_read_b32 v65, v7 offset:21056                           // 000000021CE4: D86C5240 41000007
	ds_read_b32 v66, v7 offset:21120                           // 000000021CEC: D86C5280 42000007
	ds_read_b32 v67, v7 offset:21184                           // 000000021CF4: D86C52C0 43000007
	ds_read_b32 v68, v7 offset:21248                           // 000000021CFC: D86C5300 44000007
	ds_read_b32 v69, v7 offset:21312                           // 000000021D04: D86C5340 45000007
	ds_read_b32 v70, v7 offset:21376                           // 000000021D0C: D86C5380 46000007
	ds_read_b32 v71, v7 offset:21440                           // 000000021D14: D86C53C0 47000007
	ds_read_b32 v72, v7 offset:21504                           // 000000021D1C: D86C5400 48000007
	ds_read_b32 v73, v7 offset:21568                           // 000000021D24: D86C5440 49000007
	ds_read_b32 v74, v7 offset:21632                           // 000000021D2C: D86C5480 4A000007
	ds_read_b32 v75, v7 offset:21696                           // 000000021D34: D86C54C0 4B000007
	ds_read_b32 v76, v7 offset:21760                           // 000000021D3C: D86C5500 4C000007
	ds_read_b32 v77, v7 offset:21824                           // 000000021D44: D86C5540 4D000007
	ds_read_b32 v78, v7 offset:21888                           // 000000021D4C: D86C5580 4E000007
	ds_read_b32 v79, v7 offset:21952                           // 000000021D54: D86C55C0 4F000007
	v_mul_f32_e32 v41, v52, v41                                // 000000021D5C: 0A525334
	v_mov_b32_e32 v15, v160                                    // 000000021D60: 7E1E03A0
	v_add_f32_e32 v15, v161, v15                               // 000000021D64: 021E1FA1
	v_add_f32_e32 v15, v162, v15                               // 000000021D68: 021E1FA2
	v_add_f32_e32 v15, v163, v15                               // 000000021D6C: 021E1FA3
	v_add_f32_e32 v15, v164, v15                               // 000000021D70: 021E1FA4
	v_add_f32_e32 v15, v165, v15                               // 000000021D74: 021E1FA5
	v_add_f32_e32 v15, v166, v15                               // 000000021D78: 021E1FA6
	v_add_f32_e32 v15, v167, v15                               // 000000021D7C: 021E1FA7
	v_add_f32_e32 v15, v168, v15                               // 000000021D80: 021E1FA8
	v_add_f32_e32 v15, v169, v15                               // 000000021D84: 021E1FA9
	v_add_f32_e32 v15, v170, v15                               // 000000021D88: 021E1FAA
	v_add_f32_e32 v15, v171, v15                               // 000000021D8C: 021E1FAB
	v_add_f32_e32 v15, v172, v15                               // 000000021D90: 021E1FAC
	v_add_f32_e32 v15, v173, v15                               // 000000021D94: 021E1FAD
	v_add_f32_e32 v15, v174, v15                               // 000000021D98: 021E1FAE
	v_add_f32_e32 v15, v175, v15                               // 000000021D9C: 021E1FAF
	v_add_f32_e32 v41, v15, v41                                // 000000021DA0: 0252530F
	s_waitcnt lgkmcnt(0)                                       // 000000021DA4: BF8CC07F
	v_max3_f32 v48, |v64|, |v65|, v48                          // 000000021DA8: D1D30330 04C28340
	v_max3_f32 v48, |v66|, |v67|, v48                          // 000000021DB0: D1D30330 04C28742
	v_max3_f32 v48, |v68|, |v69|, v48                          // 000000021DB8: D1D30330 04C28B44
	v_max3_f32 v48, |v70|, |v71|, v48                          // 000000021DC0: D1D30330 04C28F46
	v_max3_f32 v48, |v72|, |v73|, v48                          // 000000021DC8: D1D30330 04C29348
	v_max3_f32 v48, |v74|, |v75|, v48                          // 000000021DD0: D1D30330 04C2974A
	v_max3_f32 v48, |v76|, |v77|, v48                          // 000000021DD8: D1D30330 04C29B4C
	v_max3_f32 v48, |v78|, |v79|, v48                          // 000000021DE0: D1D30330 04C29F4E
	s_nop 2                                                    // 000000021DE8: BF800002
	v_rcp_f32_e32 v48, v48                                     // 000000021DEC: 7E604530
	s_nop 1                                                    // 000000021DF0: BF800001
	v_mul_f32_e32 v48, 0x43e00000, v48                         // 000000021DF4: 0A6060FF 43E00000
	v_mul_f32_e32 v160, v48, v240                              // 000000021DFC: 0B41E130
	v_mul_f32_e32 v161, v48, v241                              // 000000021E00: 0B43E330
	v_mul_f32_e32 v162, v48, v242                              // 000000021E04: 0B45E530
	v_mul_f32_e32 v163, v48, v243                              // 000000021E08: 0B47E730
	v_mul_f32_e32 v164, v48, v244                              // 000000021E0C: 0B49E930
	v_mul_f32_e32 v165, v48, v245                              // 000000021E10: 0B4BEB30
	v_mul_f32_e32 v166, v48, v246                              // 000000021E14: 0B4DED30
	v_mul_f32_e32 v167, v48, v247                              // 000000021E18: 0B4FEF30
	v_mul_f32_e32 v168, v48, v248                              // 000000021E1C: 0B51F130
	v_mul_f32_e32 v169, v48, v249                              // 000000021E20: 0B53F330
	v_mul_f32_e32 v170, v48, v250                              // 000000021E24: 0B55F530
	v_mul_f32_e32 v171, v48, v251                              // 000000021E28: 0B57F730
	v_mul_f32_e32 v172, v48, v252                              // 000000021E2C: 0B59F930
	v_mul_f32_e32 v173, v48, v253                              // 000000021E30: 0B5BFB30
	v_mul_f32_e32 v174, v48, v254                              // 000000021E34: 0B5DFD30
	v_mul_f32_e32 v175, v48, v255                              // 000000021E38: 0B5FFF30
	v_cvt_pk_fp8_f32 v160, v160, v161                          // 000000021E3C: D2A200A0 000343A0
	v_cvt_pk_fp8_f32 v160, v162, v163 op_sel:[0,0,1]           // 000000021E44: D2A240A0 000347A2
	v_cvt_pk_fp8_f32 v161, v164, v165                          // 000000021E4C: D2A200A1 00034BA4
	v_cvt_pk_fp8_f32 v161, v166, v167 op_sel:[0,0,1]           // 000000021E54: D2A240A1 00034FA6
	v_cvt_pk_fp8_f32 v162, v168, v169                          // 000000021E5C: D2A200A2 000353A8
	v_cvt_pk_fp8_f32 v162, v170, v171 op_sel:[0,0,1]           // 000000021E64: D2A240A2 000357AA
	v_cvt_pk_fp8_f32 v163, v172, v173                          // 000000021E6C: D2A200A3 00035BAC
	v_cvt_pk_fp8_f32 v163, v174, v175 op_sel:[0,0,1]           // 000000021E74: D2A240A3 00035FAE
	ds_write_b32 v10, v160 offset:37376                        // 000000021E7C: D81A9200 0000A00A
	ds_write_b32 v10, v161 offset:38400                        // 000000021E84: D81A9600 0000A10A
	ds_write_b32 v10, v162 offset:39424                        // 000000021E8C: D81A9A00 0000A20A
	ds_write_b32 v10, v163 offset:40448                        // 000000021E94: D81A9E00 0000A30A
	v_add_f32_e32 v232, v232, v200                             // 000000021E9C: 03D191E8
	v_add_f32_e32 v233, v233, v201                             // 000000021EA0: 03D393E9
	v_add_f32_e32 v234, v234, v202                             // 000000021EA4: 03D595EA
	v_add_f32_e32 v235, v235, v203                             // 000000021EA8: 03D797EB
	v_add_f32_e32 v236, v236, v204                             // 000000021EAC: 03D999EC
	v_add_f32_e32 v237, v237, v205                             // 000000021EB0: 03DB9BED
	v_add_f32_e32 v238, v238, v206                             // 000000021EB4: 03DD9DEE
	v_add_f32_e32 v239, v239, v207                             // 000000021EB8: 03DF9FEF
	v_rcp_f32_e32 v47, v48                                     // 000000021EBC: 7E5E4530
	s_waitcnt lgkmcnt(0)                                       // 000000021EC0: BF8CC07F
	s_barrier                                                  // 000000021EC4: BF8A0000
	ds_read_b64 v[160:161], v9 offset:37376                    // 000000021EC8: D8EC9200 A0000009
	ds_read_b64 v[162:163], v9 offset:37504                    // 000000021ED0: D8EC9280 A2000009
	ds_read_b64 v[164:165], v9 offset:38400                    // 000000021ED8: D8EC9600 A4000009
	ds_read_b64 v[166:167], v9 offset:38528                    // 000000021EE0: D8EC9680 A6000009
	ds_read_b64 v[168:169], v9 offset:39424                    // 000000021EE8: D8EC9A00 A8000009
	ds_read_b64 v[170:171], v9 offset:39552                    // 000000021EF0: D8EC9A80 AA000009
	ds_read_b64 v[172:173], v9 offset:40448                    // 000000021EF8: D8EC9E00 AC000009
	ds_read_b64 v[174:175], v9 offset:40576                    // 000000021F00: D8EC9E80 AE000009
	s_waitcnt vmcnt(15)                                        // 000000021F08: BF8C0F7F
	v_mfma_f32_16x16x32_fp8_fp8 v[176:179], a[96:97], v[112:113], 0// 000000021F0C: D3F300B0 0A02E160
	buffer_load_dwordx4 a[80:83], v30, s[20:23], 0 offen offset:1024// 000000021F14: E05C1400 8085501E
	v_mfma_f32_16x16x32_fp8_fp8 v[176:179], a[98:99], v[114:115], v[176:179]// 000000021F1C: D3F300B0 0EC2E562
	v_mfma_f32_16x16x32_fp8_fp8 v[176:179], a[100:101], v[116:117], v[176:179]// 000000021F24: D3F300B0 0EC2E964
	v_mfma_f32_16x16x32_fp8_fp8 v[176:179], a[102:103], v[118:119], v[176:179]// 000000021F2C: D3F300B0 0EC2ED66
	v_mfma_f32_16x16x32_fp8_fp8 v[176:179], a[104:105], v[120:121], v[176:179]// 000000021F34: D3F300B0 0EC2F168
	buffer_load_dwordx4 a[84:87], v31, s[20:23], 0 offen offset:1024// 000000021F3C: E05C1400 8085541F
	v_mfma_f32_16x16x32_fp8_fp8 v[176:179], a[106:107], v[122:123], v[176:179]// 000000021F44: D3F300B0 0EC2F56A
	v_mfma_f32_16x16x32_fp8_fp8 v[176:179], a[108:109], v[124:125], v[176:179]// 000000021F4C: D3F300B0 0EC2F96C
	v_mfma_f32_16x16x32_fp8_fp8 v[176:179], a[110:111], v[126:127], v[176:179]// 000000021F54: D3F300B0 0EC2FD6E
	v_mfma_f32_16x16x32_fp8_fp8 v[180:183], a[112:113], v[112:113], 0// 000000021F5C: D3F300B4 0A02E170
	buffer_load_dwordx4 a[88:91], v32, s[20:23], 0 offen offset:1024// 000000021F64: E05C1400 80855820
	v_mfma_f32_16x16x32_fp8_fp8 v[180:183], a[114:115], v[114:115], v[180:183]// 000000021F6C: D3F300B4 0ED2E572
	v_mfma_f32_16x16x32_fp8_fp8 v[180:183], a[116:117], v[116:117], v[180:183]// 000000021F74: D3F300B4 0ED2E974
	v_mfma_f32_16x16x32_fp8_fp8 v[180:183], a[118:119], v[118:119], v[180:183]// 000000021F7C: D3F300B4 0ED2ED76
	v_mfma_f32_16x16x32_fp8_fp8 v[180:183], a[120:121], v[120:121], v[180:183]// 000000021F84: D3F300B4 0ED2F178
	buffer_load_dwordx4 a[92:95], v33, s[20:23], 0 offen offset:1024// 000000021F8C: E05C1400 80855C21
	v_mfma_f32_16x16x32_fp8_fp8 v[180:183], a[122:123], v[122:123], v[180:183]// 000000021F94: D3F300B4 0ED2F57A
	v_mfma_f32_16x16x32_fp8_fp8 v[180:183], a[124:125], v[124:125], v[180:183]// 000000021F9C: D3F300B4 0ED2F97C
	s_lshr_b32 s57, s70, 4                                     // 000000021FA4: 8F398446
	s_add_u32 s57, 48, s57                                     // 000000021FA8: 803939B0
	v_mfma_f32_16x16x32_fp8_fp8 v[180:183], a[126:127], v[126:127], v[180:183]// 000000021FAC: D3F300B4 0ED2FD7E
	s_cmp_ge_u32 s57, s73                                      // 000000021FB4: BF094939
	s_cselect_b32 s56, 0, s56                                  // 000000021FB8: 85383880
	v_mfma_f32_16x16x32_fp8_fp8 v[184:187], a[96:97], v[128:129], 0// 000000021FBC: D3F300B8 0A030160
	v_mfma_f32_16x16x32_fp8_fp8 v[184:187], a[98:99], v[130:131], v[184:187]// 000000021FC4: D3F300B8 0EE30562
	v_mfma_f32_16x16x32_fp8_fp8 v[184:187], a[100:101], v[132:133], v[184:187]// 000000021FCC: D3F300B8 0EE30964
	v_mfma_f32_16x16x32_fp8_fp8 v[184:187], a[102:103], v[134:135], v[184:187]// 000000021FD4: D3F300B8 0EE30D66
	v_mfma_f32_16x16x32_fp8_fp8 v[184:187], a[104:105], v[136:137], v[184:187]// 000000021FDC: D3F300B8 0EE31168
	v_mfma_f32_16x16x32_fp8_fp8 v[184:187], a[106:107], v[138:139], v[184:187]// 000000021FE4: D3F300B8 0EE3156A
	v_mfma_f32_16x16x32_fp8_fp8 v[184:187], a[108:109], v[140:141], v[184:187]// 000000021FEC: D3F300B8 0EE3196C
	v_mfma_f32_16x16x32_fp8_fp8 v[184:187], a[110:111], v[142:143], v[184:187]// 000000021FF4: D3F300B8 0EE31D6E
	v_mfma_f32_16x16x32_fp8_fp8 v[188:191], a[112:113], v[128:129], 0// 000000021FFC: D3F300BC 0A030170
	v_mfma_f32_16x16x32_fp8_fp8 v[188:191], a[114:115], v[130:131], v[188:191]// 000000022004: D3F300BC 0EF30572
	v_mfma_f32_16x16x32_fp8_fp8 v[188:191], a[116:117], v[132:133], v[188:191]// 00000002200C: D3F300BC 0EF30974
	v_mfma_f32_16x16x32_fp8_fp8 v[188:191], a[118:119], v[134:135], v[188:191]// 000000022014: D3F300BC 0EF30D76
	v_mfma_f32_16x16x32_fp8_fp8 v[188:191], a[120:121], v[136:137], v[188:191]// 00000002201C: D3F300BC 0EF31178
	v_mfma_f32_16x16x32_fp8_fp8 v[188:191], a[122:123], v[138:139], v[188:191]// 000000022024: D3F300BC 0EF3157A
	v_mfma_f32_16x16x32_fp8_fp8 v[188:191], a[124:125], v[140:141], v[188:191]// 00000002202C: D3F300BC 0EF3197C
	v_mfma_f32_16x16x32_fp8_fp8 v[188:191], a[126:127], v[142:143], v[188:191]// 000000022034: D3F300BC 0EF31D7E
	v_mfma_f32_16x16x32_fp8_fp8 v[192:195], a[96:97], v[144:145], 0// 00000002203C: D3F300C0 0A032160
	v_mfma_f32_16x16x32_fp8_fp8 v[192:195], a[98:99], v[146:147], v[192:195]// 000000022044: D3F300C0 0F032562
	v_mfma_f32_16x16x32_fp8_fp8 v[192:195], a[100:101], v[148:149], v[192:195]// 00000002204C: D3F300C0 0F032964
	v_mfma_f32_16x16x32_fp8_fp8 v[192:195], a[102:103], v[150:151], v[192:195]// 000000022054: D3F300C0 0F032D66
	v_mfma_f32_16x16x32_fp8_fp8 v[192:195], a[104:105], v[152:153], v[192:195]// 00000002205C: D3F300C0 0F033168
	v_mfma_f32_16x16x32_fp8_fp8 v[192:195], a[106:107], v[154:155], v[192:195]// 000000022064: D3F300C0 0F03356A
	v_mfma_f32_16x16x32_fp8_fp8 v[192:195], a[108:109], v[156:157], v[192:195]// 00000002206C: D3F300C0 0F03396C
	v_mfma_f32_16x16x32_fp8_fp8 v[192:195], a[110:111], v[158:159], v[192:195]// 000000022074: D3F300C0 0F033D6E
	v_mfma_f32_16x16x32_fp8_fp8 v[196:199], a[112:113], v[144:145], 0// 00000002207C: D3F300C4 0A032170
	v_mfma_f32_16x16x32_fp8_fp8 v[196:199], a[114:115], v[146:147], v[196:199]// 000000022084: D3F300C4 0F132572
	v_mfma_f32_16x16x32_fp8_fp8 v[196:199], a[116:117], v[148:149], v[196:199]// 00000002208C: D3F300C4 0F132974
	v_mfma_f32_16x16x32_fp8_fp8 v[196:199], a[118:119], v[150:151], v[196:199]// 000000022094: D3F300C4 0F132D76
	v_mfma_f32_16x16x32_fp8_fp8 v[196:199], a[120:121], v[152:153], v[196:199]// 00000002209C: D3F300C4 0F133178
	v_mfma_f32_16x16x32_fp8_fp8 v[196:199], a[122:123], v[154:155], v[196:199]// 0000000220A4: D3F300C4 0F13357A
	v_mfma_f32_16x16x32_fp8_fp8 v[196:199], a[124:125], v[156:157], v[196:199]// 0000000220AC: D3F300C4 0F13397C
	v_mfma_f32_16x16x32_fp8_fp8 v[196:199], a[126:127], v[158:159], v[196:199]// 0000000220B4: D3F300C4 0F133D7E
	v_mfma_f32_16x16x32_fp8_fp8 v[200:203], a[96:97], v[160:161], 0// 0000000220BC: D3F300C8 0A034160
	v_mfma_f32_16x16x32_fp8_fp8 v[200:203], a[98:99], v[162:163], v[200:203]// 0000000220C4: D3F300C8 0F234562
	v_mfma_f32_16x16x32_fp8_fp8 v[200:203], a[100:101], v[164:165], v[200:203]// 0000000220CC: D3F300C8 0F234964
	v_mfma_f32_16x16x32_fp8_fp8 v[200:203], a[102:103], v[166:167], v[200:203]// 0000000220D4: D3F300C8 0F234D66
	v_mfma_f32_16x16x32_fp8_fp8 v[200:203], a[104:105], v[168:169], v[200:203]// 0000000220DC: D3F300C8 0F235168
	v_mfma_f32_16x16x32_fp8_fp8 v[200:203], a[106:107], v[170:171], v[200:203]// 0000000220E4: D3F300C8 0F23556A
	v_mfma_f32_16x16x32_fp8_fp8 v[200:203], a[108:109], v[172:173], v[200:203]// 0000000220EC: D3F300C8 0F23596C
	v_mfma_f32_16x16x32_fp8_fp8 v[200:203], a[110:111], v[174:175], v[200:203]// 0000000220F4: D3F300C8 0F235D6E
	v_mfma_f32_16x16x32_fp8_fp8 v[204:207], a[112:113], v[160:161], 0// 0000000220FC: D3F300CC 0A034170
	v_mfma_f32_16x16x32_fp8_fp8 v[204:207], a[114:115], v[162:163], v[204:207]// 000000022104: D3F300CC 0F334572
	v_mfma_f32_16x16x32_fp8_fp8 v[204:207], a[116:117], v[164:165], v[204:207]// 00000002210C: D3F300CC 0F334974
	v_mfma_f32_16x16x32_fp8_fp8 v[204:207], a[118:119], v[166:167], v[204:207]// 000000022114: D3F300CC 0F334D76
	v_mfma_f32_16x16x32_fp8_fp8 v[204:207], a[120:121], v[168:169], v[204:207]// 00000002211C: D3F300CC 0F335178
	v_mfma_f32_16x16x32_fp8_fp8 v[204:207], a[122:123], v[170:171], v[204:207]// 000000022124: D3F300CC 0F33557A
	v_mfma_f32_16x16x32_fp8_fp8 v[204:207], a[124:125], v[172:173], v[204:207]// 00000002212C: D3F300CC 0F33597C
	v_mfma_f32_16x16x32_fp8_fp8 v[204:207], a[126:127], v[174:175], v[204:207]// 000000022134: D3F300CC 0F335D7E
	v_add_u32_e32 v1, s56, v1                                  // 00000002213C: 68020238
	s_addk_i32 s70, 0x100                                      // 000000022140: B7460100
	s_cmp_lt_i32 s70, s71                                      // 000000022144: BF044746
	s_cbranch_scc0 label_6F74                                  // 000000022148: BF84EFA1
	s_branch label_6F77                                        // 00000002214C: BF82EFA3

0000000000022150 <label_7FD4>:
	s_lshr_b32 s60, s71, 4                                     // 000000022150: 8F3C8447
	s_cmp_eq_i32 s60, s73                                      // 000000022154: BF00493C
	s_cbranch_scc1 label_931F                                  // 000000022158: BF851348
	s_lshr_b32 s60, s71, 8                                     // 00000002215C: 8F3C8847
	s_and_b32 s60, s60, 1                                      // 000000022160: 863C813C
	s_cmp_eq_i32 s60, 1                                        // 000000022164: BF00813C
	s_cbranch_scc1 label_897D                                  // 000000022168: BF8509A2
	s_waitcnt vmcnt(8) lgkmcnt(0)                              // 00000002216C: BF8C0078
	s_barrier                                                  // 000000022170: BF8A0000
	v_mfma_f32_16x16x32_fp8_fp8 v[112:115], a[0:1], v[80:81], 0// 000000022174: D3F30070 0A02A100
	v_mfma_f32_16x16x32_fp8_fp8 v[112:115], a[2:3], v[82:83], v[112:115]// 00000002217C: D3F30070 0DC2A502
	v_mfma_f32_16x16x32_fp8_fp8 v[112:115], a[4:5], v[84:85], v[112:115]// 000000022184: D3F30070 0DC2A904
	v_mfma_f32_16x16x32_fp8_fp8 v[112:115], a[6:7], v[86:87], v[112:115]// 00000002218C: D3F30070 0DC2AD06
	v_mfma_f32_16x16x32_fp8_fp8 v[116:119], a[8:9], v[80:81], 0// 000000022194: D3F30074 0A02A108
	v_mfma_f32_16x16x32_fp8_fp8 v[116:119], a[10:11], v[82:83], v[116:119]// 00000002219C: D3F30074 0DD2A50A
	v_mfma_f32_16x16x32_fp8_fp8 v[116:119], a[12:13], v[84:85], v[116:119]// 0000000221A4: D3F30074 0DD2A90C
	v_mfma_f32_16x16x32_fp8_fp8 v[116:119], a[14:15], v[86:87], v[116:119]// 0000000221AC: D3F30074 0DD2AD0E
	v_mfma_f32_16x16x32_fp8_fp8 v[120:123], a[16:17], v[80:81], 0// 0000000221B4: D3F30078 0A02A110
	v_mfma_f32_16x16x32_fp8_fp8 v[120:123], a[18:19], v[82:83], v[120:123]// 0000000221BC: D3F30078 0DE2A512
	v_mfma_f32_16x16x32_fp8_fp8 v[120:123], a[20:21], v[84:85], v[120:123]// 0000000221C4: D3F30078 0DE2A914
	v_mfma_f32_16x16x32_fp8_fp8 v[120:123], a[22:23], v[86:87], v[120:123]// 0000000221CC: D3F30078 0DE2AD16
	v_mfma_f32_16x16x32_fp8_fp8 v[124:127], a[24:25], v[80:81], 0// 0000000221D4: D3F3007C 0A02A118
	v_mfma_f32_16x16x32_fp8_fp8 v[124:127], a[26:27], v[82:83], v[124:127]// 0000000221DC: D3F3007C 0DF2A51A
	v_mfma_f32_16x16x32_fp8_fp8 v[124:127], a[28:29], v[84:85], v[124:127]// 0000000221E4: D3F3007C 0DF2A91C
	v_mfma_f32_16x16x32_fp8_fp8 v[124:127], a[30:31], v[86:87], v[124:127]// 0000000221EC: D3F3007C 0DF2AD1E
	v_mfma_f32_16x16x32_fp8_fp8 v[128:131], a[0:1], v[88:89], 0// 0000000221F4: D3F30080 0A02B100
	v_mfma_f32_16x16x32_fp8_fp8 v[128:131], a[2:3], v[90:91], v[128:131]// 0000000221FC: D3F30080 0E02B502
	v_mfma_f32_16x16x32_fp8_fp8 v[128:131], a[4:5], v[92:93], v[128:131]// 000000022204: D3F30080 0E02B904
	v_mfma_f32_16x16x32_fp8_fp8 v[128:131], a[6:7], v[94:95], v[128:131]// 00000002220C: D3F30080 0E02BD06
	v_mfma_f32_16x16x32_fp8_fp8 v[132:135], a[8:9], v[88:89], 0// 000000022214: D3F30084 0A02B108
	v_mfma_f32_16x16x32_fp8_fp8 v[132:135], a[10:11], v[90:91], v[132:135]// 00000002221C: D3F30084 0E12B50A
	v_mfma_f32_16x16x32_fp8_fp8 v[132:135], a[12:13], v[92:93], v[132:135]// 000000022224: D3F30084 0E12B90C
	v_mfma_f32_16x16x32_fp8_fp8 v[132:135], a[14:15], v[94:95], v[132:135]// 00000002222C: D3F30084 0E12BD0E
	v_mfma_f32_16x16x32_fp8_fp8 v[136:139], a[16:17], v[88:89], 0// 000000022234: D3F30088 0A02B110
	v_mfma_f32_16x16x32_fp8_fp8 v[136:139], a[18:19], v[90:91], v[136:139]// 00000002223C: D3F30088 0E22B512
	v_mfma_f32_16x16x32_fp8_fp8 v[136:139], a[20:21], v[92:93], v[136:139]// 000000022244: D3F30088 0E22B914
	v_mfma_f32_16x16x32_fp8_fp8 v[136:139], a[22:23], v[94:95], v[136:139]// 00000002224C: D3F30088 0E22BD16
	v_mfma_f32_16x16x32_fp8_fp8 v[140:143], a[24:25], v[88:89], 0// 000000022254: D3F3008C 0A02B118
	v_mfma_f32_16x16x32_fp8_fp8 v[140:143], a[26:27], v[90:91], v[140:143]// 00000002225C: D3F3008C 0E32B51A
	v_mfma_f32_16x16x32_fp8_fp8 v[140:143], a[28:29], v[92:93], v[140:143]// 000000022264: D3F3008C 0E32B91C
	v_mfma_f32_16x16x32_fp8_fp8 v[140:143], a[30:31], v[94:95], v[140:143]// 00000002226C: D3F3008C 0E32BD1E
	v_mfma_f32_16x16x32_fp8_fp8 v[144:147], a[0:1], v[96:97], 0// 000000022274: D3F30090 0A02C100
	v_mfma_f32_16x16x32_fp8_fp8 v[144:147], a[2:3], v[98:99], v[144:147]// 00000002227C: D3F30090 0E42C502
	v_mfma_f32_16x16x32_fp8_fp8 v[144:147], a[4:5], v[100:101], v[144:147]// 000000022284: D3F30090 0E42C904
	v_mfma_f32_16x16x32_fp8_fp8 v[144:147], a[6:7], v[102:103], v[144:147]// 00000002228C: D3F30090 0E42CD06
	v_mfma_f32_16x16x32_fp8_fp8 v[148:151], a[8:9], v[96:97], 0// 000000022294: D3F30094 0A02C108
	v_mfma_f32_16x16x32_fp8_fp8 v[148:151], a[10:11], v[98:99], v[148:151]// 00000002229C: D3F30094 0E52C50A
	v_mfma_f32_16x16x32_fp8_fp8 v[148:151], a[12:13], v[100:101], v[148:151]// 0000000222A4: D3F30094 0E52C90C
	v_mfma_f32_16x16x32_fp8_fp8 v[148:151], a[14:15], v[102:103], v[148:151]// 0000000222AC: D3F30094 0E52CD0E
	v_mfma_f32_16x16x32_fp8_fp8 v[152:155], a[16:17], v[96:97], 0// 0000000222B4: D3F30098 0A02C110
	v_mfma_f32_16x16x32_fp8_fp8 v[152:155], a[18:19], v[98:99], v[152:155]// 0000000222BC: D3F30098 0E62C512
	v_mfma_f32_16x16x32_fp8_fp8 v[152:155], a[20:21], v[100:101], v[152:155]// 0000000222C4: D3F30098 0E62C914
	v_mfma_f32_16x16x32_fp8_fp8 v[152:155], a[22:23], v[102:103], v[152:155]// 0000000222CC: D3F30098 0E62CD16
	v_mfma_f32_16x16x32_fp8_fp8 v[156:159], a[24:25], v[96:97], 0// 0000000222D4: D3F3009C 0A02C118
	v_mfma_f32_16x16x32_fp8_fp8 v[156:159], a[26:27], v[98:99], v[156:159]// 0000000222DC: D3F3009C 0E72C51A
	v_mfma_f32_16x16x32_fp8_fp8 v[156:159], a[28:29], v[100:101], v[156:159]// 0000000222E4: D3F3009C 0E72C91C
	v_mfma_f32_16x16x32_fp8_fp8 v[156:159], a[30:31], v[102:103], v[156:159]// 0000000222EC: D3F3009C 0E72CD1E
	v_mfma_f32_16x16x32_fp8_fp8 v[160:163], a[0:1], v[104:105], 0// 0000000222F4: D3F300A0 0A02D100
	v_mfma_f32_16x16x32_fp8_fp8 v[160:163], a[2:3], v[106:107], v[160:163]// 0000000222FC: D3F300A0 0E82D502
	v_mfma_f32_16x16x32_fp8_fp8 v[160:163], a[4:5], v[108:109], v[160:163]// 000000022304: D3F300A0 0E82D904
	v_mfma_f32_16x16x32_fp8_fp8 v[160:163], a[6:7], v[110:111], v[160:163]// 00000002230C: D3F300A0 0E82DD06
	v_mfma_f32_16x16x32_fp8_fp8 v[164:167], a[8:9], v[104:105], 0// 000000022314: D3F300A4 0A02D108
	v_mfma_f32_16x16x32_fp8_fp8 v[164:167], a[10:11], v[106:107], v[164:167]// 00000002231C: D3F300A4 0E92D50A
	v_mfma_f32_16x16x32_fp8_fp8 v[164:167], a[12:13], v[108:109], v[164:167]// 000000022324: D3F300A4 0E92D90C
	v_mfma_f32_16x16x32_fp8_fp8 v[164:167], a[14:15], v[110:111], v[164:167]// 00000002232C: D3F300A4 0E92DD0E
	v_mfma_f32_16x16x32_fp8_fp8 v[168:171], a[16:17], v[104:105], 0// 000000022334: D3F300A8 0A02D110
	v_mfma_f32_16x16x32_fp8_fp8 v[168:171], a[18:19], v[106:107], v[168:171]// 00000002233C: D3F300A8 0EA2D512
	v_mfma_f32_16x16x32_fp8_fp8 v[168:171], a[20:21], v[108:109], v[168:171]// 000000022344: D3F300A8 0EA2D914
	v_mfma_f32_16x16x32_fp8_fp8 v[168:171], a[22:23], v[110:111], v[168:171]// 00000002234C: D3F300A8 0EA2DD16
	v_mfma_f32_16x16x32_fp8_fp8 v[172:175], a[24:25], v[104:105], 0// 000000022354: D3F300AC 0A02D118
	v_mfma_f32_16x16x32_fp8_fp8 v[172:175], a[26:27], v[106:107], v[172:175]// 00000002235C: D3F300AC 0EB2D51A
	v_mfma_f32_16x16x32_fp8_fp8 v[172:175], a[28:29], v[108:109], v[172:175]// 000000022364: D3F300AC 0EB2D91C
	v_mfma_f32_16x16x32_fp8_fp8 v[172:175], a[30:31], v[110:111], v[172:175]// 00000002236C: D3F300AC 0EB2DD1E
	v_mov_b32_dpp v64, v42 row_shr:4 row_mask:0xf bank_mask:0xf// 000000022374: 7E8002FA FF01142A
	v_mov_b32_dpp v65, v42 row_shl:4 row_mask:0xf bank_mask:0xf// 00000002237C: 7E8202FA FF01042A
	v_cndmask_b32_e64 v248, v42, v64, s[44:45]                 // 000000022384: D10000F8 00B2812A
	v_cndmask_b32_e64 v249, v65, v42, s[44:45]                 // 00000002238C: D10000F9 00B25541
	v_mov_b32_dpp v64, v248 row_shr:8 row_mask:0xf bank_mask:0xf// 000000022394: 7E8002FA FF0118F8
	v_mov_b32_dpp v65, v248 row_shl:8 row_mask:0xf bank_mask:0xf// 00000002239C: 7E8202FA FF0108F8
	v_mov_b32_dpp v66, v249 row_shr:8 row_mask:0xf bank_mask:0xf// 0000000223A4: 7E8402FA FF0118F9
	v_mov_b32_dpp v67, v249 row_shl:8 row_mask:0xf bank_mask:0xf// 0000000223AC: 7E8602FA FF0108F9
	v_mov_b32_e32 v68, v248                                    // 0000000223B4: 7E8803F8
	v_mov_b32_e32 v69, v249                                    // 0000000223B8: 7E8A03F9
	v_cndmask_b32_e64 v248, v68, v64, s[42:43]                 // 0000000223BC: D10000F8 00AA8144
	v_cndmask_b32_e64 v250, v68, v65, s[78:79]                 // 0000000223C4: D10000FA 013A8344
	v_cndmask_b32_e64 v249, v69, v66, s[42:43]                 // 0000000223CC: D10000F9 00AA8545
	v_cndmask_b32_e64 v251, v69, v67, s[78:79]                 // 0000000223D4: D10000FB 013A8745
	v_mov_b32_dpp v64, v57 row_shr:4 row_mask:0xf bank_mask:0xf// 0000000223DC: 7E8002FA FF011439
	v_mov_b32_dpp v65, v57 row_shl:4 row_mask:0xf bank_mask:0xf// 0000000223E4: 7E8202FA FF010439
	v_cndmask_b32_e64 v252, v57, v64, s[44:45]                 // 0000000223EC: D10000FC 00B28139
	v_cndmask_b32_e64 v253, v65, v57, s[44:45]                 // 0000000223F4: D10000FD 00B27341
	v_mov_b32_dpp v64, v252 row_shr:8 row_mask:0xf bank_mask:0xf// 0000000223FC: 7E8002FA FF0118FC
	v_mov_b32_dpp v65, v252 row_shl:8 row_mask:0xf bank_mask:0xf// 000000022404: 7E8202FA FF0108FC
	v_mov_b32_dpp v66, v253 row_shr:8 row_mask:0xf bank_mask:0xf// 00000002240C: 7E8402FA FF0118FD
	v_mov_b32_dpp v67, v253 row_shl:8 row_mask:0xf bank_mask:0xf// 000000022414: 7E8602FA FF0108FD
	v_mov_b32_e32 v68, v252                                    // 00000002241C: 7E8803FC
	v_mov_b32_e32 v69, v253                                    // 000000022420: 7E8A03FD
	v_cndmask_b32_e64 v252, v68, v64, s[42:43]                 // 000000022424: D10000FC 00AA8144
	v_cndmask_b32_e64 v254, v68, v65, s[78:79]                 // 00000002242C: D10000FE 013A8344
	v_cndmask_b32_e64 v253, v69, v66, s[42:43]                 // 000000022434: D10000FD 00AA8545
	v_cndmask_b32_e64 v255, v69, v67, s[78:79]                 // 00000002243C: D10000FF 013A8745
	v_mul_f32_e32 v112, v18, v112                              // 000000022444: 0AE0E112
	v_mul_f32_e32 v113, v18, v113                              // 000000022448: 0AE2E312
	v_mul_f32_e32 v114, v18, v114                              // 00000002244C: 0AE4E512
	v_mul_f32_e32 v115, v18, v115                              // 000000022450: 0AE6E712
	v_mul_f32_e32 v116, v18, v116                              // 000000022454: 0AE8E912
	v_mul_f32_e32 v117, v18, v117                              // 000000022458: 0AEAEB12
	v_mul_f32_e32 v118, v18, v118                              // 00000002245C: 0AECED12
	v_mul_f32_e32 v119, v18, v119                              // 000000022460: 0AEEEF12
	v_mul_f32_e32 v120, v18, v120                              // 000000022464: 0AF0F112
	v_mul_f32_e32 v121, v18, v121                              // 000000022468: 0AF2F312
	v_mul_f32_e32 v122, v18, v122                              // 00000002246C: 0AF4F512
	v_mul_f32_e32 v123, v18, v123                              // 000000022470: 0AF6F712
	v_mul_f32_e32 v124, v18, v124                              // 000000022474: 0AF8F912
	v_mul_f32_e32 v125, v18, v125                              // 000000022478: 0AFAFB12
	v_mul_f32_e32 v126, v18, v126                              // 00000002247C: 0AFCFD12
	v_mul_f32_e32 v127, v18, v127                              // 000000022480: 0AFEFF12
	v_mul_f32_dpp v112, v248, v112 quad_perm:[0,0,0,0] row_mask:0xf bank_mask:0xf// 000000022484: 0AE0E0FA FF0000F8
	v_mul_f32_dpp v113, v248, v113 quad_perm:[1,1,1,1] row_mask:0xf bank_mask:0xf// 00000002248C: 0AE2E2FA FF0055F8
	v_mul_f32_dpp v114, v248, v114 quad_perm:[2,2,2,2] row_mask:0xf bank_mask:0xf// 000000022494: 0AE4E4FA FF00AAF8
	v_mul_f32_dpp v115, v248, v115 quad_perm:[3,3,3,3] row_mask:0xf bank_mask:0xf// 00000002249C: 0AE6E6FA FF00FFF8
	v_mul_f32_dpp v116, v249, v116 quad_perm:[0,0,0,0] row_mask:0xf bank_mask:0xf// 0000000224A4: 0AE8E8FA FF0000F9
	v_mul_f32_dpp v117, v249, v117 quad_perm:[1,1,1,1] row_mask:0xf bank_mask:0xf// 0000000224AC: 0AEAEAFA FF0055F9
	v_mul_f32_dpp v118, v249, v118 quad_perm:[2,2,2,2] row_mask:0xf bank_mask:0xf// 0000000224B4: 0AECECFA FF00AAF9
	v_mul_f32_dpp v119, v249, v119 quad_perm:[3,3,3,3] row_mask:0xf bank_mask:0xf// 0000000224BC: 0AEEEEFA FF00FFF9
	v_mul_f32_dpp v120, v250, v120 quad_perm:[0,0,0,0] row_mask:0xf bank_mask:0xf// 0000000224C4: 0AF0F0FA FF0000FA
	v_mul_f32_dpp v121, v250, v121 quad_perm:[1,1,1,1] row_mask:0xf bank_mask:0xf// 0000000224CC: 0AF2F2FA FF0055FA
	v_mul_f32_dpp v122, v250, v122 quad_perm:[2,2,2,2] row_mask:0xf bank_mask:0xf// 0000000224D4: 0AF4F4FA FF00AAFA
	v_mul_f32_dpp v123, v250, v123 quad_perm:[3,3,3,3] row_mask:0xf bank_mask:0xf// 0000000224DC: 0AF6F6FA FF00FFFA
	v_mul_f32_dpp v124, v251, v124 quad_perm:[0,0,0,0] row_mask:0xf bank_mask:0xf// 0000000224E4: 0AF8F8FA FF0000FB
	v_mul_f32_dpp v125, v251, v125 quad_perm:[1,1,1,1] row_mask:0xf bank_mask:0xf// 0000000224EC: 0AFAFAFA FF0055FB
	v_mul_f32_dpp v126, v251, v126 quad_perm:[2,2,2,2] row_mask:0xf bank_mask:0xf// 0000000224F4: 0AFCFCFA FF00AAFB
	v_mul_f32_dpp v127, v251, v127 quad_perm:[3,3,3,3] row_mask:0xf bank_mask:0xf// 0000000224FC: 0AFEFEFA FF00FFFB
	s_and_b32 s60, s72, 0xff                                   // 000000022504: 863CFF48 000000FF
	v_mov_b32_e32 v65, s60                                     // 00000002250C: 7E82023C
	v_lshrrev_b32_e32 v240, 4, v0                              // 000000022510: 21E00084
	v_mul_i32_i24_e32 v240, 4, v240                            // 000000022514: 0DE1E084
	s_mul_i32 s60, s7, 16                                      // 000000022518: 923C9007
	v_add_u32_e32 v240, s60, v240                              // 00000002251C: 69E1E03C
	v_add_u32_e32 v241, 1, v240                                // 000000022520: 69E3E081
	v_add_u32_e32 v242, 2, v240                                // 000000022524: 69E5E082
	v_add_u32_e32 v243, 3, v240                                // 000000022528: 69E7E083
	v_mov_b32_e32 v64, 0xff800000                              // 00000002252C: 7E8002FF FF800000
	v_cmp_lt_u32_e64 s[40:41], v240, v65                       // 000000022534: D0C90028 000283F0
	v_add_u32_e32 v240, 64, v240                               // 00000002253C: 69E1E0C0
	s_nop 0                                                    // 000000022540: BF800000
	v_cndmask_b32_e64 v112, v64, v112, s[40:41]                // 000000022544: D1000070 00A2E140
	v_cmp_lt_u32_e64 s[40:41], v241, v65                       // 00000002254C: D0C90028 000283F1
	v_add_u32_e32 v241, 64, v241                               // 000000022554: 69E3E2C0
	s_nop 0                                                    // 000000022558: BF800000
	v_cndmask_b32_e64 v113, v64, v113, s[40:41]                // 00000002255C: D1000071 00A2E340
	v_cmp_lt_u32_e64 s[40:41], v242, v65                       // 000000022564: D0C90028 000283F2
	v_add_u32_e32 v242, 64, v242                               // 00000002256C: 69E5E4C0
	s_nop 0                                                    // 000000022570: BF800000
	v_cndmask_b32_e64 v114, v64, v114, s[40:41]                // 000000022574: D1000072 00A2E540
	v_cmp_lt_u32_e64 s[40:41], v243, v65                       // 00000002257C: D0C90028 000283F3
	v_add_u32_e32 v243, 64, v243                               // 000000022584: 69E7E6C0
	s_nop 0                                                    // 000000022588: BF800000
	v_cndmask_b32_e64 v115, v64, v115, s[40:41]                // 00000002258C: D1000073 00A2E740
	v_cmp_lt_u32_e64 s[40:41], v240, v65                       // 000000022594: D0C90028 000283F0
	v_add_u32_e32 v240, 64, v240                               // 00000002259C: 69E1E0C0
	s_nop 0                                                    // 0000000225A0: BF800000
	v_cndmask_b32_e64 v116, v64, v116, s[40:41]                // 0000000225A4: D1000074 00A2E940
	v_cmp_lt_u32_e64 s[40:41], v241, v65                       // 0000000225AC: D0C90028 000283F1
	v_add_u32_e32 v241, 64, v241                               // 0000000225B4: 69E3E2C0
	s_nop 0                                                    // 0000000225B8: BF800000
	v_cndmask_b32_e64 v117, v64, v117, s[40:41]                // 0000000225BC: D1000075 00A2EB40
	v_cmp_lt_u32_e64 s[40:41], v242, v65                       // 0000000225C4: D0C90028 000283F2
	v_add_u32_e32 v242, 64, v242                               // 0000000225CC: 69E5E4C0
	s_nop 0                                                    // 0000000225D0: BF800000
	v_cndmask_b32_e64 v118, v64, v118, s[40:41]                // 0000000225D4: D1000076 00A2ED40
	v_cmp_lt_u32_e64 s[40:41], v243, v65                       // 0000000225DC: D0C90028 000283F3
	v_add_u32_e32 v243, 64, v243                               // 0000000225E4: 69E7E6C0
	s_nop 0                                                    // 0000000225E8: BF800000
	v_cndmask_b32_e64 v119, v64, v119, s[40:41]                // 0000000225EC: D1000077 00A2EF40
	v_cmp_lt_u32_e64 s[40:41], v240, v65                       // 0000000225F4: D0C90028 000283F0
	v_add_u32_e32 v240, 64, v240                               // 0000000225FC: 69E1E0C0
	s_nop 0                                                    // 000000022600: BF800000
	v_cndmask_b32_e64 v120, v64, v120, s[40:41]                // 000000022604: D1000078 00A2F140
	v_cmp_lt_u32_e64 s[40:41], v241, v65                       // 00000002260C: D0C90028 000283F1
	v_add_u32_e32 v241, 64, v241                               // 000000022614: 69E3E2C0
	s_nop 0                                                    // 000000022618: BF800000
	v_cndmask_b32_e64 v121, v64, v121, s[40:41]                // 00000002261C: D1000079 00A2F340
	v_cmp_lt_u32_e64 s[40:41], v242, v65                       // 000000022624: D0C90028 000283F2
	v_add_u32_e32 v242, 64, v242                               // 00000002262C: 69E5E4C0
	s_nop 0                                                    // 000000022630: BF800000
	v_cndmask_b32_e64 v122, v64, v122, s[40:41]                // 000000022634: D100007A 00A2F540
	v_cmp_lt_u32_e64 s[40:41], v243, v65                       // 00000002263C: D0C90028 000283F3
	v_add_u32_e32 v243, 64, v243                               // 000000022644: 69E7E6C0
	s_nop 0                                                    // 000000022648: BF800000
	v_cndmask_b32_e64 v123, v64, v123, s[40:41]                // 00000002264C: D100007B 00A2F740
	v_cmp_lt_u32_e64 s[40:41], v240, v65                       // 000000022654: D0C90028 000283F0
	v_add_u32_e32 v240, 64, v240                               // 00000002265C: 69E1E0C0
	s_nop 0                                                    // 000000022660: BF800000
	v_cndmask_b32_e64 v124, v64, v124, s[40:41]                // 000000022664: D100007C 00A2F940
	v_cmp_lt_u32_e64 s[40:41], v241, v65                       // 00000002266C: D0C90028 000283F1
	v_add_u32_e32 v241, 64, v241                               // 000000022674: 69E3E2C0
	s_nop 0                                                    // 000000022678: BF800000
	v_cndmask_b32_e64 v125, v64, v125, s[40:41]                // 00000002267C: D100007D 00A2FB40
	v_cmp_lt_u32_e64 s[40:41], v242, v65                       // 000000022684: D0C90028 000283F2
	v_add_u32_e32 v242, 64, v242                               // 00000002268C: 69E5E4C0
	s_nop 0                                                    // 000000022690: BF800000
	v_cndmask_b32_e64 v126, v64, v126, s[40:41]                // 000000022694: D100007E 00A2FD40
	v_cmp_lt_u32_e64 s[40:41], v243, v65                       // 00000002269C: D0C90028 000283F3
	v_add_u32_e32 v243, 64, v243                               // 0000000226A4: 69E7E6C0
	s_nop 0                                                    // 0000000226A8: BF800000
	v_cndmask_b32_e64 v127, v64, v127, s[40:41]                // 0000000226AC: D100007F 00A2FF40
	v_mov_b32_e32 v48, v112                                    // 0000000226B4: 7E600370
	v_max3_f32 v48, v112, v113, v48                            // 0000000226B8: D1D30030 04C2E370
	v_max3_f32 v48, v114, v115, v48                            // 0000000226C0: D1D30030 04C2E772
	v_max3_f32 v48, v116, v117, v48                            // 0000000226C8: D1D30030 04C2EB74
	v_max3_f32 v48, v118, v119, v48                            // 0000000226D0: D1D30030 04C2EF76
	v_max3_f32 v48, v120, v121, v48                            // 0000000226D8: D1D30030 04C2F378
	v_max3_f32 v48, v122, v123, v48                            // 0000000226E0: D1D30030 04C2F77A
	v_max3_f32 v48, v124, v125, v48                            // 0000000226E8: D1D30030 04C2FB7C
	v_max3_f32 v48, v126, v127, v48                            // 0000000226F0: D1D30030 04C2FF7E
	ds_write_b32 v8, v48 offset:16896                          // 0000000226F8: D81A4200 00003008
	v_mul_u32_u24_dpp v64, v17, v54 row_newbcast:1 row_mask:0xf bank_mask:0xf// 000000022700: 10806CFA FF015111
	v_mul_u32_u24_dpp v65, v17, v54 row_newbcast:5 row_mask:0xf bank_mask:0xf// 000000022708: 10826CFA FF015511
	v_mul_u32_u24_dpp v66, v17, v54 row_newbcast:9 row_mask:0xf bank_mask:0xf// 000000022710: 10846CFA FF015911
	v_mul_u32_u24_dpp v67, v17, v54 row_newbcast:13 row_mask:0xf bank_mask:0xf// 000000022718: 10866CFA FF015D11
	v_add_u32_e32 v34, v64, v6                                 // 000000022720: 68440D40
	v_add_u32_e32 v35, v65, v6                                 // 000000022724: 68460D41
	v_add_u32_e32 v36, v66, v6                                 // 000000022728: 68480D42
	v_add_u32_e32 v37, v67, v6                                 // 00000002272C: 684A0D43
	v_mul_f32_e32 v208, v49, v208                              // 000000022730: 0BA1A131
	v_mul_f32_e32 v209, v49, v209                              // 000000022734: 0BA3A331
	v_mul_f32_e32 v210, v49, v210                              // 000000022738: 0BA5A531
	v_mul_f32_e32 v211, v49, v211                              // 00000002273C: 0BA7A731
	v_mul_f32_e32 v212, v49, v212                              // 000000022740: 0BA9A931
	v_mul_f32_e32 v213, v49, v213                              // 000000022744: 0BABAB31
	v_mul_f32_e32 v214, v49, v214                              // 000000022748: 0BADAD31
	v_mul_f32_e32 v215, v49, v215                              // 00000002274C: 0BAFAF31
	s_waitcnt lgkmcnt(0)                                       // 000000022750: BF8CC07F
	s_barrier                                                  // 000000022754: BF8A0000
	ds_read_b32 v64, v7 offset:16896                           // 000000022758: D86C4200 40000007
	ds_read_b32 v65, v7 offset:16960                           // 000000022760: D86C4240 41000007
	ds_read_b32 v66, v7 offset:17024                           // 000000022768: D86C4280 42000007
	ds_read_b32 v67, v7 offset:17088                           // 000000022770: D86C42C0 43000007
	ds_read_b32 v68, v7 offset:17152                           // 000000022778: D86C4300 44000007
	ds_read_b32 v69, v7 offset:17216                           // 000000022780: D86C4340 45000007
	ds_read_b32 v70, v7 offset:17280                           // 000000022788: D86C4380 46000007
	ds_read_b32 v71, v7 offset:17344                           // 000000022790: D86C43C0 47000007
	ds_read_b32 v72, v7 offset:17408                           // 000000022798: D86C4400 48000007
	ds_read_b32 v73, v7 offset:17472                           // 0000000227A0: D86C4440 49000007
	ds_read_b32 v74, v7 offset:17536                           // 0000000227A8: D86C4480 4A000007
	ds_read_b32 v75, v7 offset:17600                           // 0000000227B0: D86C44C0 4B000007
	ds_read_b32 v76, v7 offset:17664                           // 0000000227B8: D86C4500 4C000007
	ds_read_b32 v77, v7 offset:17728                           // 0000000227C0: D86C4540 4D000007
	ds_read_b32 v78, v7 offset:17792                           // 0000000227C8: D86C4580 4E000007
	ds_read_b32 v79, v7 offset:17856                           // 0000000227D0: D86C45C0 4F000007
	v_mul_f32_e32 v176, v44, v176                              // 0000000227D8: 0B61612C
	v_mul_f32_e32 v177, v44, v177                              // 0000000227DC: 0B63632C
	v_mul_f32_e32 v178, v44, v178                              // 0000000227E0: 0B65652C
	v_mul_f32_e32 v179, v44, v179                              // 0000000227E4: 0B67672C
	v_mul_f32_e32 v180, v44, v180                              // 0000000227E8: 0B69692C
	v_mul_f32_e32 v181, v44, v181                              // 0000000227EC: 0B6B6B2C
	v_mul_f32_e32 v182, v44, v182                              // 0000000227F0: 0B6D6D2C
	v_mul_f32_e32 v183, v44, v183                              // 0000000227F4: 0B6F6F2C
	s_waitcnt lgkmcnt(0)                                       // 0000000227F8: BF8CC07F
	v_max3_f32 v48, v64, v65, v48                              // 0000000227FC: D1D30030 04C28340
	v_max3_f32 v48, v66, v67, v48                              // 000000022804: D1D30030 04C28742
	v_max3_f32 v48, v68, v69, v48                              // 00000002280C: D1D30030 04C28B44
	v_max3_f32 v48, v70, v71, v48                              // 000000022814: D1D30030 04C28F46
	v_max3_f32 v48, v72, v73, v48                              // 00000002281C: D1D30030 04C29348
	v_max3_f32 v48, v74, v75, v48                              // 000000022824: D1D30030 04C2974A
	v_max3_f32 v48, v76, v77, v48                              // 00000002282C: D1D30030 04C29B4C
	v_max3_f32 v48, v78, v79, v48                              // 000000022834: D1D30030 04C29F4E
	v_mov_b32_e32 v64, 0xff800000                              // 00000002283C: 7E8002FF FF800000
	v_cmp_eq_u32_e64 s[40:41], v64, v11                        // 000000022844: D0CA0028 00021740
	s_nop 1                                                    // 00000002284C: BF800001
	v_max_f32_e32 v15, v48, v11                                // 000000022850: 161E1730
	v_mul_f32_e32 v53, s64, v15                                // 000000022854: 0A6A1E40
	v_fma_f32 v112, v112, s64, -v53                            // 000000022858: D1CB0070 84D48170
	v_fma_f32 v113, v113, s64, -v53                            // 000000022860: D1CB0071 84D48171
	v_fma_f32 v114, v114, s64, -v53                            // 000000022868: D1CB0072 84D48172
	v_fma_f32 v115, v115, s64, -v53                            // 000000022870: D1CB0073 84D48173
	v_fma_f32 v116, v116, s64, -v53                            // 000000022878: D1CB0074 84D48174
	v_fma_f32 v117, v117, s64, -v53                            // 000000022880: D1CB0075 84D48175
	v_fma_f32 v118, v118, s64, -v53                            // 000000022888: D1CB0076 84D48176
	v_fma_f32 v119, v119, s64, -v53                            // 000000022890: D1CB0077 84D48177
	v_fma_f32 v120, v120, s64, -v53                            // 000000022898: D1CB0078 84D48178
	v_fma_f32 v121, v121, s64, -v53                            // 0000000228A0: D1CB0079 84D48179
	v_fma_f32 v122, v122, s64, -v53                            // 0000000228A8: D1CB007A 84D4817A
	v_fma_f32 v123, v123, s64, -v53                            // 0000000228B0: D1CB007B 84D4817B
	v_fma_f32 v124, v124, s64, -v53                            // 0000000228B8: D1CB007C 84D4817C
	v_fma_f32 v125, v125, s64, -v53                            // 0000000228C0: D1CB007D 84D4817D
	v_fma_f32 v126, v126, s64, -v53                            // 0000000228C8: D1CB007E 84D4817E
	v_fma_f32 v127, v127, s64, -v53                            // 0000000228D0: D1CB007F 84D4817F
	v_exp_f32_e32 v112, v112                                   // 0000000228D8: 7EE04170
	v_exp_f32_e32 v113, v113                                   // 0000000228DC: 7EE24171
	v_exp_f32_e32 v114, v114                                   // 0000000228E0: 7EE44172
	v_exp_f32_e32 v115, v115                                   // 0000000228E4: 7EE64173
	v_exp_f32_e32 v116, v116                                   // 0000000228E8: 7EE84174
	v_exp_f32_e32 v117, v117                                   // 0000000228EC: 7EEA4175
	v_exp_f32_e32 v118, v118                                   // 0000000228F0: 7EEC4176
	v_exp_f32_e32 v119, v119                                   // 0000000228F4: 7EEE4177
	v_exp_f32_e32 v120, v120                                   // 0000000228F8: 7EF04178
	v_exp_f32_e32 v121, v121                                   // 0000000228FC: 7EF24179
	v_exp_f32_e32 v122, v122                                   // 000000022900: 7EF4417A
	v_exp_f32_e32 v123, v123                                   // 000000022904: 7EF6417B
	v_exp_f32_e32 v124, v124                                   // 000000022908: 7EF8417C
	v_exp_f32_e32 v125, v125                                   // 00000002290C: 7EFA417D
	v_exp_f32_e32 v126, v126                                   // 000000022910: 7EFC417E
	v_exp_f32_e32 v127, v127                                   // 000000022914: 7EFE417F
	v_mul_f32_dpp v240, v252, v112 quad_perm:[0,0,0,0] row_mask:0xf bank_mask:0xf// 000000022918: 0BE0E0FA FF0000FC
	v_mul_f32_dpp v241, v252, v113 quad_perm:[1,1,1,1] row_mask:0xf bank_mask:0xf// 000000022920: 0BE2E2FA FF0055FC
	v_mul_f32_dpp v242, v252, v114 quad_perm:[2,2,2,2] row_mask:0xf bank_mask:0xf// 000000022928: 0BE4E4FA FF00AAFC
	v_mul_f32_dpp v243, v252, v115 quad_perm:[3,3,3,3] row_mask:0xf bank_mask:0xf// 000000022930: 0BE6E6FA FF00FFFC
	v_mul_f32_dpp v244, v253, v116 quad_perm:[0,0,0,0] row_mask:0xf bank_mask:0xf// 000000022938: 0BE8E8FA FF0000FD
	v_mul_f32_dpp v245, v253, v117 quad_perm:[1,1,1,1] row_mask:0xf bank_mask:0xf// 000000022940: 0BEAEAFA FF0055FD
	v_mul_f32_dpp v246, v253, v118 quad_perm:[2,2,2,2] row_mask:0xf bank_mask:0xf// 000000022948: 0BECECFA FF00AAFD
	v_mul_f32_dpp v247, v253, v119 quad_perm:[3,3,3,3] row_mask:0xf bank_mask:0xf// 000000022950: 0BEEEEFA FF00FFFD
	v_mul_f32_dpp v248, v254, v120 quad_perm:[0,0,0,0] row_mask:0xf bank_mask:0xf// 000000022958: 0BF0F0FA FF0000FE
	v_mul_f32_dpp v249, v254, v121 quad_perm:[1,1,1,1] row_mask:0xf bank_mask:0xf// 000000022960: 0BF2F2FA FF0055FE
	v_mul_f32_dpp v250, v254, v122 quad_perm:[2,2,2,2] row_mask:0xf bank_mask:0xf// 000000022968: 0BF4F4FA FF00AAFE
	v_mul_f32_dpp v251, v254, v123 quad_perm:[3,3,3,3] row_mask:0xf bank_mask:0xf// 000000022970: 0BF6F6FA FF00FFFE
	v_mul_f32_dpp v252, v255, v124 quad_perm:[0,0,0,0] row_mask:0xf bank_mask:0xf// 000000022978: 0BF8F8FA FF0000FF
	v_mul_f32_dpp v253, v255, v125 quad_perm:[1,1,1,1] row_mask:0xf bank_mask:0xf// 000000022980: 0BFAFAFA FF0055FF
	v_mul_f32_dpp v254, v255, v126 quad_perm:[2,2,2,2] row_mask:0xf bank_mask:0xf// 000000022988: 0BFCFCFA FF00AAFF
	v_mul_f32_dpp v255, v255, v127 quad_perm:[3,3,3,3] row_mask:0xf bank_mask:0xf// 000000022990: 0BFEFEFA FF00FFFF
	v_mov_b32_e32 v48, 0x358637bd                              // 000000022998: 7E6002FF 358637BD
	v_max3_f32 v48, |v240|, |v241|, v48                        // 0000000229A0: D1D30330 04C3E3F0
	v_max3_f32 v48, |v242|, |v243|, v48                        // 0000000229A8: D1D30330 04C3E7F2
	v_max3_f32 v48, |v244|, |v245|, v48                        // 0000000229B0: D1D30330 04C3EBF4
	v_max3_f32 v48, |v246|, |v247|, v48                        // 0000000229B8: D1D30330 04C3EFF6
	v_max3_f32 v48, |v248|, |v249|, v48                        // 0000000229C0: D1D30330 04C3F3F8
	v_max3_f32 v48, |v250|, |v251|, v48                        // 0000000229C8: D1D30330 04C3F7FA
	v_max3_f32 v48, |v252|, |v253|, v48                        // 0000000229D0: D1D30330 04C3FBFC
	v_max3_f32 v48, |v254|, |v255|, v48                        // 0000000229D8: D1D30330 04C3FFFE
	ds_write_b32 v8, v48 offset:20992                          // 0000000229E0: D81A5200 00003008
	v_sub_f32_e32 v49, v11, v15                                // 0000000229E8: 04621F0B
	v_cndmask_b32_e64 v49, v49, 0, s[40:41]                    // 0000000229EC: D1000031 00A10131
	v_mov_b32_e32 v11, v15                                     // 0000000229F4: 7E16030F
	v_mul_f32_e32 v49, s64, v49                                // 0000000229F8: 0A626240
	v_exp_f32_e32 v49, v49                                     // 0000000229FC: 7E624131
	s_waitcnt lgkmcnt(0)                                       // 000000022A00: BF8CC07F
	s_barrier                                                  // 000000022A04: BF8A0000
	ds_read_b32 v64, v7 offset:20992                           // 000000022A08: D86C5200 40000007
	ds_read_b32 v65, v7 offset:21056                           // 000000022A10: D86C5240 41000007
	ds_read_b32 v66, v7 offset:21120                           // 000000022A18: D86C5280 42000007
	ds_read_b32 v67, v7 offset:21184                           // 000000022A20: D86C52C0 43000007
	ds_read_b32 v68, v7 offset:21248                           // 000000022A28: D86C5300 44000007
	ds_read_b32 v69, v7 offset:21312                           // 000000022A30: D86C5340 45000007
	ds_read_b32 v70, v7 offset:21376                           // 000000022A38: D86C5380 46000007
	ds_read_b32 v71, v7 offset:21440                           // 000000022A40: D86C53C0 47000007
	ds_read_b32 v72, v7 offset:21504                           // 000000022A48: D86C5400 48000007
	ds_read_b32 v73, v7 offset:21568                           // 000000022A50: D86C5440 49000007
	ds_read_b32 v74, v7 offset:21632                           // 000000022A58: D86C5480 4A000007
	ds_read_b32 v75, v7 offset:21696                           // 000000022A60: D86C54C0 4B000007
	ds_read_b32 v76, v7 offset:21760                           // 000000022A68: D86C5500 4C000007
	ds_read_b32 v77, v7 offset:21824                           // 000000022A70: D86C5540 4D000007
	ds_read_b32 v78, v7 offset:21888                           // 000000022A78: D86C5580 4E000007
	ds_read_b32 v79, v7 offset:21952                           // 000000022A80: D86C55C0 4F000007
	v_mul_f32_e32 v38, v49, v38                                // 000000022A88: 0A4C4D31
	v_mov_b32_e32 v15, v112                                    // 000000022A8C: 7E1E0370
	v_add_f32_e32 v15, v113, v15                               // 000000022A90: 021E1F71
	v_add_f32_e32 v15, v114, v15                               // 000000022A94: 021E1F72
	v_add_f32_e32 v15, v115, v15                               // 000000022A98: 021E1F73
	v_add_f32_e32 v15, v116, v15                               // 000000022A9C: 021E1F74
	v_add_f32_e32 v15, v117, v15                               // 000000022AA0: 021E1F75
	v_add_f32_e32 v15, v118, v15                               // 000000022AA4: 021E1F76
	v_add_f32_e32 v15, v119, v15                               // 000000022AA8: 021E1F77
	v_add_f32_e32 v15, v120, v15                               // 000000022AAC: 021E1F78
	v_add_f32_e32 v15, v121, v15                               // 000000022AB0: 021E1F79
	v_add_f32_e32 v15, v122, v15                               // 000000022AB4: 021E1F7A
	v_add_f32_e32 v15, v123, v15                               // 000000022AB8: 021E1F7B
	v_add_f32_e32 v15, v124, v15                               // 000000022ABC: 021E1F7C
	v_add_f32_e32 v15, v125, v15                               // 000000022AC0: 021E1F7D
	v_add_f32_e32 v15, v126, v15                               // 000000022AC4: 021E1F7E
	v_add_f32_e32 v15, v127, v15                               // 000000022AC8: 021E1F7F
	v_add_f32_e32 v38, v15, v38                                // 000000022ACC: 024C4D0F
	s_waitcnt lgkmcnt(0)                                       // 000000022AD0: BF8CC07F
	v_max3_f32 v48, |v64|, |v65|, v48                          // 000000022AD4: D1D30330 04C28340
	v_max3_f32 v48, |v66|, |v67|, v48                          // 000000022ADC: D1D30330 04C28742
	v_max3_f32 v48, |v68|, |v69|, v48                          // 000000022AE4: D1D30330 04C28B44
	v_max3_f32 v48, |v70|, |v71|, v48                          // 000000022AEC: D1D30330 04C28F46
	v_max3_f32 v48, |v72|, |v73|, v48                          // 000000022AF4: D1D30330 04C29348
	v_max3_f32 v48, |v74|, |v75|, v48                          // 000000022AFC: D1D30330 04C2974A
	v_max3_f32 v48, |v76|, |v77|, v48                          // 000000022B04: D1D30330 04C29B4C
	v_max3_f32 v48, |v78|, |v79|, v48                          // 000000022B0C: D1D30330 04C29F4E
	s_nop 2                                                    // 000000022B14: BF800002
	v_rcp_f32_e32 v48, v48                                     // 000000022B18: 7E604530
	s_nop 1                                                    // 000000022B1C: BF800001
	v_mul_f32_e32 v48, 0x43e00000, v48                         // 000000022B20: 0A6060FF 43E00000
	v_mul_f32_e32 v112, v48, v240                              // 000000022B28: 0AE1E130
	v_mul_f32_e32 v113, v48, v241                              // 000000022B2C: 0AE3E330
	v_mul_f32_e32 v114, v48, v242                              // 000000022B30: 0AE5E530
	v_mul_f32_e32 v115, v48, v243                              // 000000022B34: 0AE7E730
	v_mul_f32_e32 v116, v48, v244                              // 000000022B38: 0AE9E930
	v_mul_f32_e32 v117, v48, v245                              // 000000022B3C: 0AEBEB30
	v_mul_f32_e32 v118, v48, v246                              // 000000022B40: 0AEDED30
	v_mul_f32_e32 v119, v48, v247                              // 000000022B44: 0AEFEF30
	v_mul_f32_e32 v120, v48, v248                              // 000000022B48: 0AF1F130
	v_mul_f32_e32 v121, v48, v249                              // 000000022B4C: 0AF3F330
	v_mul_f32_e32 v122, v48, v250                              // 000000022B50: 0AF5F530
	v_mul_f32_e32 v123, v48, v251                              // 000000022B54: 0AF7F730
	v_mul_f32_e32 v124, v48, v252                              // 000000022B58: 0AF9F930
	v_mul_f32_e32 v125, v48, v253                              // 000000022B5C: 0AFBFB30
	v_mul_f32_e32 v126, v48, v254                              // 000000022B60: 0AFDFD30
	v_mul_f32_e32 v127, v48, v255                              // 000000022B64: 0AFFFF30
	v_cvt_pk_fp8_f32 v112, v112, v113                          // 000000022B68: D2A20070 0002E370
	v_cvt_pk_fp8_f32 v112, v114, v115 op_sel:[0,0,1]           // 000000022B70: D2A24070 0002E772
	v_cvt_pk_fp8_f32 v113, v116, v117                          // 000000022B78: D2A20071 0002EB74
	v_cvt_pk_fp8_f32 v113, v118, v119 op_sel:[0,0,1]           // 000000022B80: D2A24071 0002EF76
	v_cvt_pk_fp8_f32 v114, v120, v121                          // 000000022B88: D2A20072 0002F378
	v_cvt_pk_fp8_f32 v114, v122, v123 op_sel:[0,0,1]           // 000000022B90: D2A24072 0002F77A
	v_cvt_pk_fp8_f32 v115, v124, v125                          // 000000022B98: D2A20073 0002FB7C
	v_cvt_pk_fp8_f32 v115, v126, v127 op_sel:[0,0,1]           // 000000022BA0: D2A24073 0002FF7E
	ds_write_b32 v10, v112 offset:25088                        // 000000022BA8: D81A6200 0000700A
	ds_write_b32 v10, v113 offset:26112                        // 000000022BB0: D81A6600 0000710A
	ds_write_b32 v10, v114 offset:27136                        // 000000022BB8: D81A6A00 0000720A
	ds_write_b32 v10, v115 offset:28160                        // 000000022BC0: D81A6E00 0000730A
	v_add_f32_e32 v208, v208, v176                             // 000000022BC8: 03A161D0
	v_add_f32_e32 v209, v209, v177                             // 000000022BCC: 03A363D1
	v_add_f32_e32 v210, v210, v178                             // 000000022BD0: 03A565D2
	v_add_f32_e32 v211, v211, v179                             // 000000022BD4: 03A767D3
	v_add_f32_e32 v212, v212, v180                             // 000000022BD8: 03A969D4
	v_add_f32_e32 v213, v213, v181                             // 000000022BDC: 03AB6BD5
	v_add_f32_e32 v214, v214, v182                             // 000000022BE0: 03AD6DD6
	v_add_f32_e32 v215, v215, v183                             // 000000022BE4: 03AF6FD7
	v_rcp_f32_e32 v44, v48                                     // 000000022BE8: 7E584530
	s_waitcnt lgkmcnt(0)                                       // 000000022BEC: BF8CC07F
	s_barrier                                                  // 000000022BF0: BF8A0000
	ds_read_b64 v[112:113], v9 offset:25088                    // 000000022BF4: D8EC6200 70000009
	ds_read_b64 v[114:115], v9 offset:25216                    // 000000022BFC: D8EC6280 72000009
	ds_read_b64 v[116:117], v9 offset:26112                    // 000000022C04: D8EC6600 74000009
	ds_read_b64 v[118:119], v9 offset:26240                    // 000000022C0C: D8EC6680 76000009
	ds_read_b64 v[120:121], v9 offset:27136                    // 000000022C14: D8EC6A00 78000009
	ds_read_b64 v[122:123], v9 offset:27264                    // 000000022C1C: D8EC6A80 7A000009
	ds_read_b64 v[124:125], v9 offset:28160                    // 000000022C24: D8EC6E00 7C000009
	ds_read_b64 v[126:127], v9 offset:28288                    // 000000022C2C: D8EC6E80 7E000009
	v_mov_b32_dpp v64, v42 row_shr:4 row_mask:0xf bank_mask:0xf// 000000022C34: 7E8002FA FF01142A
	v_mov_b32_dpp v65, v42 row_shl:4 row_mask:0xf bank_mask:0xf// 000000022C3C: 7E8202FA FF01042A
	v_cndmask_b32_e64 v248, v42, v64, s[44:45]                 // 000000022C44: D10000F8 00B2812A
	v_cndmask_b32_e64 v249, v65, v42, s[44:45]                 // 000000022C4C: D10000F9 00B25541
	v_mov_b32_dpp v64, v248 row_shr:8 row_mask:0xf bank_mask:0xf// 000000022C54: 7E8002FA FF0118F8
	v_mov_b32_dpp v65, v248 row_shl:8 row_mask:0xf bank_mask:0xf// 000000022C5C: 7E8202FA FF0108F8
	v_mov_b32_dpp v66, v249 row_shr:8 row_mask:0xf bank_mask:0xf// 000000022C64: 7E8402FA FF0118F9
	v_mov_b32_dpp v67, v249 row_shl:8 row_mask:0xf bank_mask:0xf// 000000022C6C: 7E8602FA FF0108F9
	v_mov_b32_e32 v68, v248                                    // 000000022C74: 7E8803F8
	v_mov_b32_e32 v69, v249                                    // 000000022C78: 7E8A03F9
	v_cndmask_b32_e64 v248, v68, v64, s[42:43]                 // 000000022C7C: D10000F8 00AA8144
	v_cndmask_b32_e64 v250, v68, v65, s[78:79]                 // 000000022C84: D10000FA 013A8344
	v_cndmask_b32_e64 v249, v69, v66, s[42:43]                 // 000000022C8C: D10000F9 00AA8545
	v_cndmask_b32_e64 v251, v69, v67, s[78:79]                 // 000000022C94: D10000FB 013A8745
	v_mov_b32_dpp v64, v57 row_shr:4 row_mask:0xf bank_mask:0xf// 000000022C9C: 7E8002FA FF011439
	v_mov_b32_dpp v65, v57 row_shl:4 row_mask:0xf bank_mask:0xf// 000000022CA4: 7E8202FA FF010439
	v_cndmask_b32_e64 v252, v57, v64, s[44:45]                 // 000000022CAC: D10000FC 00B28139
	v_cndmask_b32_e64 v253, v65, v57, s[44:45]                 // 000000022CB4: D10000FD 00B27341
	v_mov_b32_dpp v64, v252 row_shr:8 row_mask:0xf bank_mask:0xf// 000000022CBC: 7E8002FA FF0118FC
	v_mov_b32_dpp v65, v252 row_shl:8 row_mask:0xf bank_mask:0xf// 000000022CC4: 7E8202FA FF0108FC
	v_mov_b32_dpp v66, v253 row_shr:8 row_mask:0xf bank_mask:0xf// 000000022CCC: 7E8402FA FF0118FD
	v_mov_b32_dpp v67, v253 row_shl:8 row_mask:0xf bank_mask:0xf// 000000022CD4: 7E8602FA FF0108FD
	v_mov_b32_e32 v68, v252                                    // 000000022CDC: 7E8803FC
	v_mov_b32_e32 v69, v253                                    // 000000022CE0: 7E8A03FD
	v_cndmask_b32_e64 v252, v68, v64, s[42:43]                 // 000000022CE4: D10000FC 00AA8144
	v_cndmask_b32_e64 v254, v68, v65, s[78:79]                 // 000000022CEC: D10000FE 013A8344
	v_cndmask_b32_e64 v253, v69, v66, s[42:43]                 // 000000022CF4: D10000FD 00AA8545
	v_cndmask_b32_e64 v255, v69, v67, s[78:79]                 // 000000022CFC: D10000FF 013A8745
	v_mul_f32_e32 v128, v19, v128                              // 000000022D04: 0B010113
	v_mul_f32_e32 v129, v19, v129                              // 000000022D08: 0B030313
	v_mul_f32_e32 v130, v19, v130                              // 000000022D0C: 0B050513
	v_mul_f32_e32 v131, v19, v131                              // 000000022D10: 0B070713
	v_mul_f32_e32 v132, v19, v132                              // 000000022D14: 0B090913
	v_mul_f32_e32 v133, v19, v133                              // 000000022D18: 0B0B0B13
	v_mul_f32_e32 v134, v19, v134                              // 000000022D1C: 0B0D0D13
	v_mul_f32_e32 v135, v19, v135                              // 000000022D20: 0B0F0F13
	v_mul_f32_e32 v136, v19, v136                              // 000000022D24: 0B111113
	v_mul_f32_e32 v137, v19, v137                              // 000000022D28: 0B131313
	v_mul_f32_e32 v138, v19, v138                              // 000000022D2C: 0B151513
	v_mul_f32_e32 v139, v19, v139                              // 000000022D30: 0B171713
	v_mul_f32_e32 v140, v19, v140                              // 000000022D34: 0B191913
	v_mul_f32_e32 v141, v19, v141                              // 000000022D38: 0B1B1B13
	v_mul_f32_e32 v142, v19, v142                              // 000000022D3C: 0B1D1D13
	v_mul_f32_e32 v143, v19, v143                              // 000000022D40: 0B1F1F13
	v_mul_f32_dpp v128, v248, v128 quad_perm:[0,0,0,0] row_mask:0xf bank_mask:0xf// 000000022D44: 0B0100FA FF0000F8
	v_mul_f32_dpp v129, v248, v129 quad_perm:[1,1,1,1] row_mask:0xf bank_mask:0xf// 000000022D4C: 0B0302FA FF0055F8
	v_mul_f32_dpp v130, v248, v130 quad_perm:[2,2,2,2] row_mask:0xf bank_mask:0xf// 000000022D54: 0B0504FA FF00AAF8
	v_mul_f32_dpp v131, v248, v131 quad_perm:[3,3,3,3] row_mask:0xf bank_mask:0xf// 000000022D5C: 0B0706FA FF00FFF8
	v_mul_f32_dpp v132, v249, v132 quad_perm:[0,0,0,0] row_mask:0xf bank_mask:0xf// 000000022D64: 0B0908FA FF0000F9
	v_mul_f32_dpp v133, v249, v133 quad_perm:[1,1,1,1] row_mask:0xf bank_mask:0xf// 000000022D6C: 0B0B0AFA FF0055F9
	v_mul_f32_dpp v134, v249, v134 quad_perm:[2,2,2,2] row_mask:0xf bank_mask:0xf// 000000022D74: 0B0D0CFA FF00AAF9
	v_mul_f32_dpp v135, v249, v135 quad_perm:[3,3,3,3] row_mask:0xf bank_mask:0xf// 000000022D7C: 0B0F0EFA FF00FFF9
	v_mul_f32_dpp v136, v250, v136 quad_perm:[0,0,0,0] row_mask:0xf bank_mask:0xf// 000000022D84: 0B1110FA FF0000FA
	v_mul_f32_dpp v137, v250, v137 quad_perm:[1,1,1,1] row_mask:0xf bank_mask:0xf// 000000022D8C: 0B1312FA FF0055FA
	v_mul_f32_dpp v138, v250, v138 quad_perm:[2,2,2,2] row_mask:0xf bank_mask:0xf// 000000022D94: 0B1514FA FF00AAFA
	v_mul_f32_dpp v139, v250, v139 quad_perm:[3,3,3,3] row_mask:0xf bank_mask:0xf// 000000022D9C: 0B1716FA FF00FFFA
	v_mul_f32_dpp v140, v251, v140 quad_perm:[0,0,0,0] row_mask:0xf bank_mask:0xf// 000000022DA4: 0B1918FA FF0000FB
	v_mul_f32_dpp v141, v251, v141 quad_perm:[1,1,1,1] row_mask:0xf bank_mask:0xf// 000000022DAC: 0B1B1AFA FF0055FB
	v_mul_f32_dpp v142, v251, v142 quad_perm:[2,2,2,2] row_mask:0xf bank_mask:0xf// 000000022DB4: 0B1D1CFA FF00AAFB
	v_mul_f32_dpp v143, v251, v143 quad_perm:[3,3,3,3] row_mask:0xf bank_mask:0xf// 000000022DBC: 0B1F1EFA FF00FFFB
	s_and_b32 s60, s72, 0xff                                   // 000000022DC4: 863CFF48 000000FF
	v_mov_b32_e32 v65, s60                                     // 000000022DCC: 7E82023C
	v_lshrrev_b32_e32 v240, 4, v0                              // 000000022DD0: 21E00084
	v_mul_i32_i24_e32 v240, 4, v240                            // 000000022DD4: 0DE1E084
	s_mul_i32 s60, s7, 16                                      // 000000022DD8: 923C9007
	v_add_u32_e32 v240, s60, v240                              // 000000022DDC: 69E1E03C
	v_add_u32_e32 v241, 1, v240                                // 000000022DE0: 69E3E081
	v_add_u32_e32 v242, 2, v240                                // 000000022DE4: 69E5E082
	v_add_u32_e32 v243, 3, v240                                // 000000022DE8: 69E7E083
	v_mov_b32_e32 v64, 0xff800000                              // 000000022DEC: 7E8002FF FF800000
	v_cmp_lt_u32_e64 s[40:41], v240, v65                       // 000000022DF4: D0C90028 000283F0
	v_add_u32_e32 v240, 64, v240                               // 000000022DFC: 69E1E0C0
	s_nop 0                                                    // 000000022E00: BF800000
	v_cndmask_b32_e64 v128, v64, v128, s[40:41]                // 000000022E04: D1000080 00A30140
	v_cmp_lt_u32_e64 s[40:41], v241, v65                       // 000000022E0C: D0C90028 000283F1
	v_add_u32_e32 v241, 64, v241                               // 000000022E14: 69E3E2C0
	s_nop 0                                                    // 000000022E18: BF800000
	v_cndmask_b32_e64 v129, v64, v129, s[40:41]                // 000000022E1C: D1000081 00A30340
	v_cmp_lt_u32_e64 s[40:41], v242, v65                       // 000000022E24: D0C90028 000283F2
	v_add_u32_e32 v242, 64, v242                               // 000000022E2C: 69E5E4C0
	s_nop 0                                                    // 000000022E30: BF800000
	v_cndmask_b32_e64 v130, v64, v130, s[40:41]                // 000000022E34: D1000082 00A30540
	v_cmp_lt_u32_e64 s[40:41], v243, v65                       // 000000022E3C: D0C90028 000283F3
	v_add_u32_e32 v243, 64, v243                               // 000000022E44: 69E7E6C0
	s_nop 0                                                    // 000000022E48: BF800000
	v_cndmask_b32_e64 v131, v64, v131, s[40:41]                // 000000022E4C: D1000083 00A30740
	v_cmp_lt_u32_e64 s[40:41], v240, v65                       // 000000022E54: D0C90028 000283F0
	v_add_u32_e32 v240, 64, v240                               // 000000022E5C: 69E1E0C0
	s_nop 0                                                    // 000000022E60: BF800000
	v_cndmask_b32_e64 v132, v64, v132, s[40:41]                // 000000022E64: D1000084 00A30940
	v_cmp_lt_u32_e64 s[40:41], v241, v65                       // 000000022E6C: D0C90028 000283F1
	v_add_u32_e32 v241, 64, v241                               // 000000022E74: 69E3E2C0
	s_nop 0                                                    // 000000022E78: BF800000
	v_cndmask_b32_e64 v133, v64, v133, s[40:41]                // 000000022E7C: D1000085 00A30B40
	v_cmp_lt_u32_e64 s[40:41], v242, v65                       // 000000022E84: D0C90028 000283F2
	v_add_u32_e32 v242, 64, v242                               // 000000022E8C: 69E5E4C0
	s_nop 0                                                    // 000000022E90: BF800000
	v_cndmask_b32_e64 v134, v64, v134, s[40:41]                // 000000022E94: D1000086 00A30D40
	v_cmp_lt_u32_e64 s[40:41], v243, v65                       // 000000022E9C: D0C90028 000283F3
	v_add_u32_e32 v243, 64, v243                               // 000000022EA4: 69E7E6C0
	s_nop 0                                                    // 000000022EA8: BF800000
	v_cndmask_b32_e64 v135, v64, v135, s[40:41]                // 000000022EAC: D1000087 00A30F40
	v_cmp_lt_u32_e64 s[40:41], v240, v65                       // 000000022EB4: D0C90028 000283F0
	v_add_u32_e32 v240, 64, v240                               // 000000022EBC: 69E1E0C0
	s_nop 0                                                    // 000000022EC0: BF800000
	v_cndmask_b32_e64 v136, v64, v136, s[40:41]                // 000000022EC4: D1000088 00A31140
	v_cmp_lt_u32_e64 s[40:41], v241, v65                       // 000000022ECC: D0C90028 000283F1
	v_add_u32_e32 v241, 64, v241                               // 000000022ED4: 69E3E2C0
	s_nop 0                                                    // 000000022ED8: BF800000
	v_cndmask_b32_e64 v137, v64, v137, s[40:41]                // 000000022EDC: D1000089 00A31340
	v_cmp_lt_u32_e64 s[40:41], v242, v65                       // 000000022EE4: D0C90028 000283F2
	v_add_u32_e32 v242, 64, v242                               // 000000022EEC: 69E5E4C0
	s_nop 0                                                    // 000000022EF0: BF800000
	v_cndmask_b32_e64 v138, v64, v138, s[40:41]                // 000000022EF4: D100008A 00A31540
	v_cmp_lt_u32_e64 s[40:41], v243, v65                       // 000000022EFC: D0C90028 000283F3
	v_add_u32_e32 v243, 64, v243                               // 000000022F04: 69E7E6C0
	s_nop 0                                                    // 000000022F08: BF800000
	v_cndmask_b32_e64 v139, v64, v139, s[40:41]                // 000000022F0C: D100008B 00A31740
	v_cmp_lt_u32_e64 s[40:41], v240, v65                       // 000000022F14: D0C90028 000283F0
	v_add_u32_e32 v240, 64, v240                               // 000000022F1C: 69E1E0C0
	s_nop 0                                                    // 000000022F20: BF800000
	v_cndmask_b32_e64 v140, v64, v140, s[40:41]                // 000000022F24: D100008C 00A31940
	v_cmp_lt_u32_e64 s[40:41], v241, v65                       // 000000022F2C: D0C90028 000283F1
	v_add_u32_e32 v241, 64, v241                               // 000000022F34: 69E3E2C0
	s_nop 0                                                    // 000000022F38: BF800000
	v_cndmask_b32_e64 v141, v64, v141, s[40:41]                // 000000022F3C: D100008D 00A31B40
	v_cmp_lt_u32_e64 s[40:41], v242, v65                       // 000000022F44: D0C90028 000283F2
	v_add_u32_e32 v242, 64, v242                               // 000000022F4C: 69E5E4C0
	s_nop 0                                                    // 000000022F50: BF800000
	v_cndmask_b32_e64 v142, v64, v142, s[40:41]                // 000000022F54: D100008E 00A31D40
	v_cmp_lt_u32_e64 s[40:41], v243, v65                       // 000000022F5C: D0C90028 000283F3
	v_add_u32_e32 v243, 64, v243                               // 000000022F64: 69E7E6C0
	s_nop 0                                                    // 000000022F68: BF800000
	v_cndmask_b32_e64 v143, v64, v143, s[40:41]                // 000000022F6C: D100008F 00A31F40
	v_mov_b32_e32 v48, v128                                    // 000000022F74: 7E600380
	v_max3_f32 v48, v128, v129, v48                            // 000000022F78: D1D30030 04C30380
	v_max3_f32 v48, v130, v131, v48                            // 000000022F80: D1D30030 04C30782
	v_max3_f32 v48, v132, v133, v48                            // 000000022F88: D1D30030 04C30B84
	v_max3_f32 v48, v134, v135, v48                            // 000000022F90: D1D30030 04C30F86
	v_max3_f32 v48, v136, v137, v48                            // 000000022F98: D1D30030 04C31388
	v_max3_f32 v48, v138, v139, v48                            // 000000022FA0: D1D30030 04C3178A
	v_max3_f32 v48, v140, v141, v48                            // 000000022FA8: D1D30030 04C31B8C
	v_max3_f32 v48, v142, v143, v48                            // 000000022FB0: D1D30030 04C31F8E
	ds_write_b32 v8, v48 offset:16896                          // 000000022FB8: D81A4200 00003008
	v_mul_f32_e32 v216, v50, v216                              // 000000022FC0: 0BB1B132
	v_mul_f32_e32 v217, v50, v217                              // 000000022FC4: 0BB3B332
	v_mul_f32_e32 v218, v50, v218                              // 000000022FC8: 0BB5B532
	v_mul_f32_e32 v219, v50, v219                              // 000000022FCC: 0BB7B732
	v_mul_f32_e32 v220, v50, v220                              // 000000022FD0: 0BB9B932
	v_mul_f32_e32 v221, v50, v221                              // 000000022FD4: 0BBBBB32
	v_mul_f32_e32 v222, v50, v222                              // 000000022FD8: 0BBDBD32
	v_mul_f32_e32 v223, v50, v223                              // 000000022FDC: 0BBFBF32
	s_waitcnt lgkmcnt(0)                                       // 000000022FE0: BF8CC07F
	s_barrier                                                  // 000000022FE4: BF8A0000
	ds_read_b32 v64, v7 offset:16896                           // 000000022FE8: D86C4200 40000007
	ds_read_b32 v65, v7 offset:16960                           // 000000022FF0: D86C4240 41000007
	ds_read_b32 v66, v7 offset:17024                           // 000000022FF8: D86C4280 42000007
	ds_read_b32 v67, v7 offset:17088                           // 000000023000: D86C42C0 43000007
	ds_read_b32 v68, v7 offset:17152                           // 000000023008: D86C4300 44000007
	ds_read_b32 v69, v7 offset:17216                           // 000000023010: D86C4340 45000007
	ds_read_b32 v70, v7 offset:17280                           // 000000023018: D86C4380 46000007
	ds_read_b32 v71, v7 offset:17344                           // 000000023020: D86C43C0 47000007
	ds_read_b32 v72, v7 offset:17408                           // 000000023028: D86C4400 48000007
	ds_read_b32 v73, v7 offset:17472                           // 000000023030: D86C4440 49000007
	ds_read_b32 v74, v7 offset:17536                           // 000000023038: D86C4480 4A000007
	ds_read_b32 v75, v7 offset:17600                           // 000000023040: D86C44C0 4B000007
	ds_read_b32 v76, v7 offset:17664                           // 000000023048: D86C4500 4C000007
	ds_read_b32 v77, v7 offset:17728                           // 000000023050: D86C4540 4D000007
	ds_read_b32 v78, v7 offset:17792                           // 000000023058: D86C4580 4E000007
	ds_read_b32 v79, v7 offset:17856                           // 000000023060: D86C45C0 4F000007
	v_mul_f32_e32 v184, v45, v184                              // 000000023068: 0B71712D
	v_mul_f32_e32 v185, v45, v185                              // 00000002306C: 0B73732D
	v_mul_f32_e32 v186, v45, v186                              // 000000023070: 0B75752D
	v_mul_f32_e32 v187, v45, v187                              // 000000023074: 0B77772D
	v_mul_f32_e32 v188, v45, v188                              // 000000023078: 0B79792D
	v_mul_f32_e32 v189, v45, v189                              // 00000002307C: 0B7B7B2D
	v_mul_f32_e32 v190, v45, v190                              // 000000023080: 0B7D7D2D
	v_mul_f32_e32 v191, v45, v191                              // 000000023084: 0B7F7F2D
	s_waitcnt lgkmcnt(0)                                       // 000000023088: BF8CC07F
	v_max3_f32 v48, v64, v65, v48                              // 00000002308C: D1D30030 04C28340
	v_max3_f32 v48, v66, v67, v48                              // 000000023094: D1D30030 04C28742
	v_max3_f32 v48, v68, v69, v48                              // 00000002309C: D1D30030 04C28B44
	v_max3_f32 v48, v70, v71, v48                              // 0000000230A4: D1D30030 04C28F46
	v_max3_f32 v48, v72, v73, v48                              // 0000000230AC: D1D30030 04C29348
	v_max3_f32 v48, v74, v75, v48                              // 0000000230B4: D1D30030 04C2974A
	v_max3_f32 v48, v76, v77, v48                              // 0000000230BC: D1D30030 04C29B4C
	v_max3_f32 v48, v78, v79, v48                              // 0000000230C4: D1D30030 04C29F4E
	v_mov_b32_e32 v64, 0xff800000                              // 0000000230CC: 7E8002FF FF800000
	v_cmp_eq_u32_e64 s[40:41], v64, v12                        // 0000000230D4: D0CA0028 00021940
	s_nop 1                                                    // 0000000230DC: BF800001
	v_max_f32_e32 v15, v48, v12                                // 0000000230E0: 161E1930
	v_mul_f32_e32 v53, s64, v15                                // 0000000230E4: 0A6A1E40
	v_fma_f32 v128, v128, s64, -v53                            // 0000000230E8: D1CB0080 84D48180
	v_fma_f32 v129, v129, s64, -v53                            // 0000000230F0: D1CB0081 84D48181
	v_fma_f32 v130, v130, s64, -v53                            // 0000000230F8: D1CB0082 84D48182
	v_fma_f32 v131, v131, s64, -v53                            // 000000023100: D1CB0083 84D48183
	v_fma_f32 v132, v132, s64, -v53                            // 000000023108: D1CB0084 84D48184
	v_fma_f32 v133, v133, s64, -v53                            // 000000023110: D1CB0085 84D48185
	v_fma_f32 v134, v134, s64, -v53                            // 000000023118: D1CB0086 84D48186
	v_fma_f32 v135, v135, s64, -v53                            // 000000023120: D1CB0087 84D48187
	v_fma_f32 v136, v136, s64, -v53                            // 000000023128: D1CB0088 84D48188
	v_fma_f32 v137, v137, s64, -v53                            // 000000023130: D1CB0089 84D48189
	v_fma_f32 v138, v138, s64, -v53                            // 000000023138: D1CB008A 84D4818A
	v_fma_f32 v139, v139, s64, -v53                            // 000000023140: D1CB008B 84D4818B
	v_fma_f32 v140, v140, s64, -v53                            // 000000023148: D1CB008C 84D4818C
	v_fma_f32 v141, v141, s64, -v53                            // 000000023150: D1CB008D 84D4818D
	v_fma_f32 v142, v142, s64, -v53                            // 000000023158: D1CB008E 84D4818E
	v_fma_f32 v143, v143, s64, -v53                            // 000000023160: D1CB008F 84D4818F
	v_exp_f32_e32 v128, v128                                   // 000000023168: 7F004180
	v_exp_f32_e32 v129, v129                                   // 00000002316C: 7F024181
	v_exp_f32_e32 v130, v130                                   // 000000023170: 7F044182
	v_exp_f32_e32 v131, v131                                   // 000000023174: 7F064183
	v_exp_f32_e32 v132, v132                                   // 000000023178: 7F084184
	v_exp_f32_e32 v133, v133                                   // 00000002317C: 7F0A4185
	v_exp_f32_e32 v134, v134                                   // 000000023180: 7F0C4186
	v_exp_f32_e32 v135, v135                                   // 000000023184: 7F0E4187
	v_exp_f32_e32 v136, v136                                   // 000000023188: 7F104188
	v_exp_f32_e32 v137, v137                                   // 00000002318C: 7F124189
	v_exp_f32_e32 v138, v138                                   // 000000023190: 7F14418A
	v_exp_f32_e32 v139, v139                                   // 000000023194: 7F16418B
	v_exp_f32_e32 v140, v140                                   // 000000023198: 7F18418C
	v_exp_f32_e32 v141, v141                                   // 00000002319C: 7F1A418D
	v_exp_f32_e32 v142, v142                                   // 0000000231A0: 7F1C418E
	v_exp_f32_e32 v143, v143                                   // 0000000231A4: 7F1E418F
	v_mul_f32_dpp v240, v252, v128 quad_perm:[0,0,0,0] row_mask:0xf bank_mask:0xf// 0000000231A8: 0BE100FA FF0000FC
	v_mul_f32_dpp v241, v252, v129 quad_perm:[1,1,1,1] row_mask:0xf bank_mask:0xf// 0000000231B0: 0BE302FA FF0055FC
	v_mul_f32_dpp v242, v252, v130 quad_perm:[2,2,2,2] row_mask:0xf bank_mask:0xf// 0000000231B8: 0BE504FA FF00AAFC
	v_mul_f32_dpp v243, v252, v131 quad_perm:[3,3,3,3] row_mask:0xf bank_mask:0xf// 0000000231C0: 0BE706FA FF00FFFC
	v_mul_f32_dpp v244, v253, v132 quad_perm:[0,0,0,0] row_mask:0xf bank_mask:0xf// 0000000231C8: 0BE908FA FF0000FD
	v_mul_f32_dpp v245, v253, v133 quad_perm:[1,1,1,1] row_mask:0xf bank_mask:0xf// 0000000231D0: 0BEB0AFA FF0055FD
	v_mul_f32_dpp v246, v253, v134 quad_perm:[2,2,2,2] row_mask:0xf bank_mask:0xf// 0000000231D8: 0BED0CFA FF00AAFD
	v_mul_f32_dpp v247, v253, v135 quad_perm:[3,3,3,3] row_mask:0xf bank_mask:0xf// 0000000231E0: 0BEF0EFA FF00FFFD
	v_mul_f32_dpp v248, v254, v136 quad_perm:[0,0,0,0] row_mask:0xf bank_mask:0xf// 0000000231E8: 0BF110FA FF0000FE
	v_mul_f32_dpp v249, v254, v137 quad_perm:[1,1,1,1] row_mask:0xf bank_mask:0xf// 0000000231F0: 0BF312FA FF0055FE
	v_mul_f32_dpp v250, v254, v138 quad_perm:[2,2,2,2] row_mask:0xf bank_mask:0xf// 0000000231F8: 0BF514FA FF00AAFE
	v_mul_f32_dpp v251, v254, v139 quad_perm:[3,3,3,3] row_mask:0xf bank_mask:0xf// 000000023200: 0BF716FA FF00FFFE
	v_mul_f32_dpp v252, v255, v140 quad_perm:[0,0,0,0] row_mask:0xf bank_mask:0xf// 000000023208: 0BF918FA FF0000FF
	v_mul_f32_dpp v253, v255, v141 quad_perm:[1,1,1,1] row_mask:0xf bank_mask:0xf// 000000023210: 0BFB1AFA FF0055FF
	v_mul_f32_dpp v254, v255, v142 quad_perm:[2,2,2,2] row_mask:0xf bank_mask:0xf// 000000023218: 0BFD1CFA FF00AAFF
	v_mul_f32_dpp v255, v255, v143 quad_perm:[3,3,3,3] row_mask:0xf bank_mask:0xf// 000000023220: 0BFF1EFA FF00FFFF
	v_mov_b32_e32 v48, 0x358637bd                              // 000000023228: 7E6002FF 358637BD
	v_max3_f32 v48, |v240|, |v241|, v48                        // 000000023230: D1D30330 04C3E3F0
	v_max3_f32 v48, |v242|, |v243|, v48                        // 000000023238: D1D30330 04C3E7F2
	v_max3_f32 v48, |v244|, |v245|, v48                        // 000000023240: D1D30330 04C3EBF4
	v_max3_f32 v48, |v246|, |v247|, v48                        // 000000023248: D1D30330 04C3EFF6
	v_max3_f32 v48, |v248|, |v249|, v48                        // 000000023250: D1D30330 04C3F3F8
	v_max3_f32 v48, |v250|, |v251|, v48                        // 000000023258: D1D30330 04C3F7FA
	v_max3_f32 v48, |v252|, |v253|, v48                        // 000000023260: D1D30330 04C3FBFC
	v_max3_f32 v48, |v254|, |v255|, v48                        // 000000023268: D1D30330 04C3FFFE
	ds_write_b32 v8, v48 offset:20992                          // 000000023270: D81A5200 00003008
	v_sub_f32_e32 v50, v12, v15                                // 000000023278: 04641F0C
	v_cndmask_b32_e64 v50, v50, 0, s[40:41]                    // 00000002327C: D1000032 00A10132
	v_mov_b32_e32 v12, v15                                     // 000000023284: 7E18030F
	v_mul_f32_e32 v50, s64, v50                                // 000000023288: 0A646440
	v_exp_f32_e32 v50, v50                                     // 00000002328C: 7E644132
	s_waitcnt lgkmcnt(0)                                       // 000000023290: BF8CC07F
	s_barrier                                                  // 000000023294: BF8A0000
	ds_read_b32 v64, v7 offset:20992                           // 000000023298: D86C5200 40000007
	ds_read_b32 v65, v7 offset:21056                           // 0000000232A0: D86C5240 41000007
	ds_read_b32 v66, v7 offset:21120                           // 0000000232A8: D86C5280 42000007
	ds_read_b32 v67, v7 offset:21184                           // 0000000232B0: D86C52C0 43000007
	ds_read_b32 v68, v7 offset:21248                           // 0000000232B8: D86C5300 44000007
	ds_read_b32 v69, v7 offset:21312                           // 0000000232C0: D86C5340 45000007
	ds_read_b32 v70, v7 offset:21376                           // 0000000232C8: D86C5380 46000007
	ds_read_b32 v71, v7 offset:21440                           // 0000000232D0: D86C53C0 47000007
	ds_read_b32 v72, v7 offset:21504                           // 0000000232D8: D86C5400 48000007
	ds_read_b32 v73, v7 offset:21568                           // 0000000232E0: D86C5440 49000007
	ds_read_b32 v74, v7 offset:21632                           // 0000000232E8: D86C5480 4A000007
	ds_read_b32 v75, v7 offset:21696                           // 0000000232F0: D86C54C0 4B000007
	ds_read_b32 v76, v7 offset:21760                           // 0000000232F8: D86C5500 4C000007
	ds_read_b32 v77, v7 offset:21824                           // 000000023300: D86C5540 4D000007
	ds_read_b32 v78, v7 offset:21888                           // 000000023308: D86C5580 4E000007
	ds_read_b32 v79, v7 offset:21952                           // 000000023310: D86C55C0 4F000007
	v_mul_f32_e32 v39, v50, v39                                // 000000023318: 0A4E4F32
	v_mov_b32_e32 v15, v128                                    // 00000002331C: 7E1E0380
	v_add_f32_e32 v15, v129, v15                               // 000000023320: 021E1F81
	v_add_f32_e32 v15, v130, v15                               // 000000023324: 021E1F82
	v_add_f32_e32 v15, v131, v15                               // 000000023328: 021E1F83
	v_add_f32_e32 v15, v132, v15                               // 00000002332C: 021E1F84
	v_add_f32_e32 v15, v133, v15                               // 000000023330: 021E1F85
	v_add_f32_e32 v15, v134, v15                               // 000000023334: 021E1F86
	v_add_f32_e32 v15, v135, v15                               // 000000023338: 021E1F87
	v_add_f32_e32 v15, v136, v15                               // 00000002333C: 021E1F88
	v_add_f32_e32 v15, v137, v15                               // 000000023340: 021E1F89
	v_add_f32_e32 v15, v138, v15                               // 000000023344: 021E1F8A
	v_add_f32_e32 v15, v139, v15                               // 000000023348: 021E1F8B
	v_add_f32_e32 v15, v140, v15                               // 00000002334C: 021E1F8C
	v_add_f32_e32 v15, v141, v15                               // 000000023350: 021E1F8D
	v_add_f32_e32 v15, v142, v15                               // 000000023354: 021E1F8E
	v_add_f32_e32 v15, v143, v15                               // 000000023358: 021E1F8F
	v_add_f32_e32 v39, v15, v39                                // 00000002335C: 024E4F0F
	s_waitcnt lgkmcnt(0)                                       // 000000023360: BF8CC07F
	v_max3_f32 v48, |v64|, |v65|, v48                          // 000000023364: D1D30330 04C28340
	v_max3_f32 v48, |v66|, |v67|, v48                          // 00000002336C: D1D30330 04C28742
	v_max3_f32 v48, |v68|, |v69|, v48                          // 000000023374: D1D30330 04C28B44
	v_max3_f32 v48, |v70|, |v71|, v48                          // 00000002337C: D1D30330 04C28F46
	v_max3_f32 v48, |v72|, |v73|, v48                          // 000000023384: D1D30330 04C29348
	v_max3_f32 v48, |v74|, |v75|, v48                          // 00000002338C: D1D30330 04C2974A
	v_max3_f32 v48, |v76|, |v77|, v48                          // 000000023394: D1D30330 04C29B4C
	v_max3_f32 v48, |v78|, |v79|, v48                          // 00000002339C: D1D30330 04C29F4E
	s_nop 2                                                    // 0000000233A4: BF800002
	v_rcp_f32_e32 v48, v48                                     // 0000000233A8: 7E604530
	s_nop 1                                                    // 0000000233AC: BF800001
	v_mul_f32_e32 v48, 0x43e00000, v48                         // 0000000233B0: 0A6060FF 43E00000
	v_mul_f32_e32 v128, v48, v240                              // 0000000233B8: 0B01E130
	v_mul_f32_e32 v129, v48, v241                              // 0000000233BC: 0B03E330
	v_mul_f32_e32 v130, v48, v242                              // 0000000233C0: 0B05E530
	v_mul_f32_e32 v131, v48, v243                              // 0000000233C4: 0B07E730
	v_mul_f32_e32 v132, v48, v244                              // 0000000233C8: 0B09E930
	v_mul_f32_e32 v133, v48, v245                              // 0000000233CC: 0B0BEB30
	v_mul_f32_e32 v134, v48, v246                              // 0000000233D0: 0B0DED30
	v_mul_f32_e32 v135, v48, v247                              // 0000000233D4: 0B0FEF30
	v_mul_f32_e32 v136, v48, v248                              // 0000000233D8: 0B11F130
	v_mul_f32_e32 v137, v48, v249                              // 0000000233DC: 0B13F330
	v_mul_f32_e32 v138, v48, v250                              // 0000000233E0: 0B15F530
	v_mul_f32_e32 v139, v48, v251                              // 0000000233E4: 0B17F730
	v_mul_f32_e32 v140, v48, v252                              // 0000000233E8: 0B19F930
	v_mul_f32_e32 v141, v48, v253                              // 0000000233EC: 0B1BFB30
	v_mul_f32_e32 v142, v48, v254                              // 0000000233F0: 0B1DFD30
	v_mul_f32_e32 v143, v48, v255                              // 0000000233F4: 0B1FFF30
	v_cvt_pk_fp8_f32 v128, v128, v129                          // 0000000233F8: D2A20080 00030380
	v_cvt_pk_fp8_f32 v128, v130, v131 op_sel:[0,0,1]           // 000000023400: D2A24080 00030782
	v_cvt_pk_fp8_f32 v129, v132, v133                          // 000000023408: D2A20081 00030B84
	v_cvt_pk_fp8_f32 v129, v134, v135 op_sel:[0,0,1]           // 000000023410: D2A24081 00030F86
	v_cvt_pk_fp8_f32 v130, v136, v137                          // 000000023418: D2A20082 00031388
	v_cvt_pk_fp8_f32 v130, v138, v139 op_sel:[0,0,1]           // 000000023420: D2A24082 0003178A
	v_cvt_pk_fp8_f32 v131, v140, v141                          // 000000023428: D2A20083 00031B8C
	v_cvt_pk_fp8_f32 v131, v142, v143 op_sel:[0,0,1]           // 000000023430: D2A24083 00031F8E
	ds_write_b32 v10, v128 offset:29184                        // 000000023438: D81A7200 0000800A
	ds_write_b32 v10, v129 offset:30208                        // 000000023440: D81A7600 0000810A
	ds_write_b32 v10, v130 offset:31232                        // 000000023448: D81A7A00 0000820A
	ds_write_b32 v10, v131 offset:32256                        // 000000023450: D81A7E00 0000830A
	v_add_f32_e32 v216, v216, v184                             // 000000023458: 03B171D8
	v_add_f32_e32 v217, v217, v185                             // 00000002345C: 03B373D9
	v_add_f32_e32 v218, v218, v186                             // 000000023460: 03B575DA
	v_add_f32_e32 v219, v219, v187                             // 000000023464: 03B777DB
	v_add_f32_e32 v220, v220, v188                             // 000000023468: 03B979DC
	v_add_f32_e32 v221, v221, v189                             // 00000002346C: 03BB7BDD
	v_add_f32_e32 v222, v222, v190                             // 000000023470: 03BD7DDE
	v_add_f32_e32 v223, v223, v191                             // 000000023474: 03BF7FDF
	v_rcp_f32_e32 v45, v48                                     // 000000023478: 7E5A4530
	s_waitcnt lgkmcnt(0)                                       // 00000002347C: BF8CC07F
	s_barrier                                                  // 000000023480: BF8A0000
	ds_read_b64 v[128:129], v9 offset:29184                    // 000000023484: D8EC7200 80000009
	ds_read_b64 v[130:131], v9 offset:29312                    // 00000002348C: D8EC7280 82000009
	ds_read_b64 v[132:133], v9 offset:30208                    // 000000023494: D8EC7600 84000009
	ds_read_b64 v[134:135], v9 offset:30336                    // 00000002349C: D8EC7680 86000009
	ds_read_b64 v[136:137], v9 offset:31232                    // 0000000234A4: D8EC7A00 88000009
	ds_read_b64 v[138:139], v9 offset:31360                    // 0000000234AC: D8EC7A80 8A000009
	ds_read_b64 v[140:141], v9 offset:32256                    // 0000000234B4: D8EC7E00 8C000009
	ds_read_b64 v[142:143], v9 offset:32384                    // 0000000234BC: D8EC7E80 8E000009
	v_mov_b32_dpp v64, v42 row_shr:4 row_mask:0xf bank_mask:0xf// 0000000234C4: 7E8002FA FF01142A
	v_mov_b32_dpp v65, v42 row_shl:4 row_mask:0xf bank_mask:0xf// 0000000234CC: 7E8202FA FF01042A
	v_cndmask_b32_e64 v248, v42, v64, s[44:45]                 // 0000000234D4: D10000F8 00B2812A
	v_cndmask_b32_e64 v249, v65, v42, s[44:45]                 // 0000000234DC: D10000F9 00B25541
	v_mov_b32_dpp v64, v248 row_shr:8 row_mask:0xf bank_mask:0xf// 0000000234E4: 7E8002FA FF0118F8
	v_mov_b32_dpp v65, v248 row_shl:8 row_mask:0xf bank_mask:0xf// 0000000234EC: 7E8202FA FF0108F8
	v_mov_b32_dpp v66, v249 row_shr:8 row_mask:0xf bank_mask:0xf// 0000000234F4: 7E8402FA FF0118F9
	v_mov_b32_dpp v67, v249 row_shl:8 row_mask:0xf bank_mask:0xf// 0000000234FC: 7E8602FA FF0108F9
	v_mov_b32_e32 v68, v248                                    // 000000023504: 7E8803F8
	v_mov_b32_e32 v69, v249                                    // 000000023508: 7E8A03F9
	v_cndmask_b32_e64 v248, v68, v64, s[42:43]                 // 00000002350C: D10000F8 00AA8144
	v_cndmask_b32_e64 v250, v68, v65, s[78:79]                 // 000000023514: D10000FA 013A8344
	v_cndmask_b32_e64 v249, v69, v66, s[42:43]                 // 00000002351C: D10000F9 00AA8545
	v_cndmask_b32_e64 v251, v69, v67, s[78:79]                 // 000000023524: D10000FB 013A8745
	v_mov_b32_dpp v64, v57 row_shr:4 row_mask:0xf bank_mask:0xf// 00000002352C: 7E8002FA FF011439
	v_mov_b32_dpp v65, v57 row_shl:4 row_mask:0xf bank_mask:0xf// 000000023534: 7E8202FA FF010439
	v_cndmask_b32_e64 v252, v57, v64, s[44:45]                 // 00000002353C: D10000FC 00B28139
	v_cndmask_b32_e64 v253, v65, v57, s[44:45]                 // 000000023544: D10000FD 00B27341
	v_mov_b32_dpp v64, v252 row_shr:8 row_mask:0xf bank_mask:0xf// 00000002354C: 7E8002FA FF0118FC
	v_mov_b32_dpp v65, v252 row_shl:8 row_mask:0xf bank_mask:0xf// 000000023554: 7E8202FA FF0108FC
	v_mov_b32_dpp v66, v253 row_shr:8 row_mask:0xf bank_mask:0xf// 00000002355C: 7E8402FA FF0118FD
	v_mov_b32_dpp v67, v253 row_shl:8 row_mask:0xf bank_mask:0xf// 000000023564: 7E8602FA FF0108FD
	v_mov_b32_e32 v68, v252                                    // 00000002356C: 7E8803FC
	v_mov_b32_e32 v69, v253                                    // 000000023570: 7E8A03FD
	v_cndmask_b32_e64 v252, v68, v64, s[42:43]                 // 000000023574: D10000FC 00AA8144
	v_cndmask_b32_e64 v254, v68, v65, s[78:79]                 // 00000002357C: D10000FE 013A8344
	v_cndmask_b32_e64 v253, v69, v66, s[42:43]                 // 000000023584: D10000FD 00AA8545
	v_cndmask_b32_e64 v255, v69, v67, s[78:79]                 // 00000002358C: D10000FF 013A8745
	v_mul_f32_e32 v144, v20, v144                              // 000000023594: 0B212114
	v_mul_f32_e32 v145, v20, v145                              // 000000023598: 0B232314
	v_mul_f32_e32 v146, v20, v146                              // 00000002359C: 0B252514
	v_mul_f32_e32 v147, v20, v147                              // 0000000235A0: 0B272714
	v_mul_f32_e32 v148, v20, v148                              // 0000000235A4: 0B292914
	v_mul_f32_e32 v149, v20, v149                              // 0000000235A8: 0B2B2B14
	v_mul_f32_e32 v150, v20, v150                              // 0000000235AC: 0B2D2D14
	v_mul_f32_e32 v151, v20, v151                              // 0000000235B0: 0B2F2F14
	v_mul_f32_e32 v152, v20, v152                              // 0000000235B4: 0B313114
	v_mul_f32_e32 v153, v20, v153                              // 0000000235B8: 0B333314
	v_mul_f32_e32 v154, v20, v154                              // 0000000235BC: 0B353514
	v_mul_f32_e32 v155, v20, v155                              // 0000000235C0: 0B373714
	v_mul_f32_e32 v156, v20, v156                              // 0000000235C4: 0B393914
	v_mul_f32_e32 v157, v20, v157                              // 0000000235C8: 0B3B3B14
	v_mul_f32_e32 v158, v20, v158                              // 0000000235CC: 0B3D3D14
	v_mul_f32_e32 v159, v20, v159                              // 0000000235D0: 0B3F3F14
	v_mul_f32_dpp v144, v248, v144 quad_perm:[0,0,0,0] row_mask:0xf bank_mask:0xf// 0000000235D4: 0B2120FA FF0000F8
	v_mul_f32_dpp v145, v248, v145 quad_perm:[1,1,1,1] row_mask:0xf bank_mask:0xf// 0000000235DC: 0B2322FA FF0055F8
	v_mul_f32_dpp v146, v248, v146 quad_perm:[2,2,2,2] row_mask:0xf bank_mask:0xf// 0000000235E4: 0B2524FA FF00AAF8
	v_mul_f32_dpp v147, v248, v147 quad_perm:[3,3,3,3] row_mask:0xf bank_mask:0xf// 0000000235EC: 0B2726FA FF00FFF8
	v_mul_f32_dpp v148, v249, v148 quad_perm:[0,0,0,0] row_mask:0xf bank_mask:0xf// 0000000235F4: 0B2928FA FF0000F9
	v_mul_f32_dpp v149, v249, v149 quad_perm:[1,1,1,1] row_mask:0xf bank_mask:0xf// 0000000235FC: 0B2B2AFA FF0055F9
	v_mul_f32_dpp v150, v249, v150 quad_perm:[2,2,2,2] row_mask:0xf bank_mask:0xf// 000000023604: 0B2D2CFA FF00AAF9
	v_mul_f32_dpp v151, v249, v151 quad_perm:[3,3,3,3] row_mask:0xf bank_mask:0xf// 00000002360C: 0B2F2EFA FF00FFF9
	v_mul_f32_dpp v152, v250, v152 quad_perm:[0,0,0,0] row_mask:0xf bank_mask:0xf// 000000023614: 0B3130FA FF0000FA
	v_mul_f32_dpp v153, v250, v153 quad_perm:[1,1,1,1] row_mask:0xf bank_mask:0xf// 00000002361C: 0B3332FA FF0055FA
	v_mul_f32_dpp v154, v250, v154 quad_perm:[2,2,2,2] row_mask:0xf bank_mask:0xf// 000000023624: 0B3534FA FF00AAFA
	v_mul_f32_dpp v155, v250, v155 quad_perm:[3,3,3,3] row_mask:0xf bank_mask:0xf// 00000002362C: 0B3736FA FF00FFFA
	v_mul_f32_dpp v156, v251, v156 quad_perm:[0,0,0,0] row_mask:0xf bank_mask:0xf// 000000023634: 0B3938FA FF0000FB
	v_mul_f32_dpp v157, v251, v157 quad_perm:[1,1,1,1] row_mask:0xf bank_mask:0xf// 00000002363C: 0B3B3AFA FF0055FB
	v_mul_f32_dpp v158, v251, v158 quad_perm:[2,2,2,2] row_mask:0xf bank_mask:0xf// 000000023644: 0B3D3CFA FF00AAFB
	v_mul_f32_dpp v159, v251, v159 quad_perm:[3,3,3,3] row_mask:0xf bank_mask:0xf// 00000002364C: 0B3F3EFA FF00FFFB
	s_and_b32 s60, s72, 0xff                                   // 000000023654: 863CFF48 000000FF
	v_mov_b32_e32 v65, s60                                     // 00000002365C: 7E82023C
	v_lshrrev_b32_e32 v240, 4, v0                              // 000000023660: 21E00084
	v_mul_i32_i24_e32 v240, 4, v240                            // 000000023664: 0DE1E084
	s_mul_i32 s60, s7, 16                                      // 000000023668: 923C9007
	v_add_u32_e32 v240, s60, v240                              // 00000002366C: 69E1E03C
	v_add_u32_e32 v241, 1, v240                                // 000000023670: 69E3E081
	v_add_u32_e32 v242, 2, v240                                // 000000023674: 69E5E082
	v_add_u32_e32 v243, 3, v240                                // 000000023678: 69E7E083
	v_mov_b32_e32 v64, 0xff800000                              // 00000002367C: 7E8002FF FF800000
	v_cmp_lt_u32_e64 s[40:41], v240, v65                       // 000000023684: D0C90028 000283F0
	v_add_u32_e32 v240, 64, v240                               // 00000002368C: 69E1E0C0
	s_nop 0                                                    // 000000023690: BF800000
	v_cndmask_b32_e64 v144, v64, v144, s[40:41]                // 000000023694: D1000090 00A32140
	v_cmp_lt_u32_e64 s[40:41], v241, v65                       // 00000002369C: D0C90028 000283F1
	v_add_u32_e32 v241, 64, v241                               // 0000000236A4: 69E3E2C0
	s_nop 0                                                    // 0000000236A8: BF800000
	v_cndmask_b32_e64 v145, v64, v145, s[40:41]                // 0000000236AC: D1000091 00A32340
	v_cmp_lt_u32_e64 s[40:41], v242, v65                       // 0000000236B4: D0C90028 000283F2
	v_add_u32_e32 v242, 64, v242                               // 0000000236BC: 69E5E4C0
	s_nop 0                                                    // 0000000236C0: BF800000
	v_cndmask_b32_e64 v146, v64, v146, s[40:41]                // 0000000236C4: D1000092 00A32540
	v_cmp_lt_u32_e64 s[40:41], v243, v65                       // 0000000236CC: D0C90028 000283F3
	v_add_u32_e32 v243, 64, v243                               // 0000000236D4: 69E7E6C0
	s_nop 0                                                    // 0000000236D8: BF800000
	v_cndmask_b32_e64 v147, v64, v147, s[40:41]                // 0000000236DC: D1000093 00A32740
	v_cmp_lt_u32_e64 s[40:41], v240, v65                       // 0000000236E4: D0C90028 000283F0
	v_add_u32_e32 v240, 64, v240                               // 0000000236EC: 69E1E0C0
	s_nop 0                                                    // 0000000236F0: BF800000
	v_cndmask_b32_e64 v148, v64, v148, s[40:41]                // 0000000236F4: D1000094 00A32940
	v_cmp_lt_u32_e64 s[40:41], v241, v65                       // 0000000236FC: D0C90028 000283F1
	v_add_u32_e32 v241, 64, v241                               // 000000023704: 69E3E2C0
	s_nop 0                                                    // 000000023708: BF800000
	v_cndmask_b32_e64 v149, v64, v149, s[40:41]                // 00000002370C: D1000095 00A32B40
	v_cmp_lt_u32_e64 s[40:41], v242, v65                       // 000000023714: D0C90028 000283F2
	v_add_u32_e32 v242, 64, v242                               // 00000002371C: 69E5E4C0
	s_nop 0                                                    // 000000023720: BF800000
	v_cndmask_b32_e64 v150, v64, v150, s[40:41]                // 000000023724: D1000096 00A32D40
	v_cmp_lt_u32_e64 s[40:41], v243, v65                       // 00000002372C: D0C90028 000283F3
	v_add_u32_e32 v243, 64, v243                               // 000000023734: 69E7E6C0
	s_nop 0                                                    // 000000023738: BF800000
	v_cndmask_b32_e64 v151, v64, v151, s[40:41]                // 00000002373C: D1000097 00A32F40
	v_cmp_lt_u32_e64 s[40:41], v240, v65                       // 000000023744: D0C90028 000283F0
	v_add_u32_e32 v240, 64, v240                               // 00000002374C: 69E1E0C0
	s_nop 0                                                    // 000000023750: BF800000
	v_cndmask_b32_e64 v152, v64, v152, s[40:41]                // 000000023754: D1000098 00A33140
	v_cmp_lt_u32_e64 s[40:41], v241, v65                       // 00000002375C: D0C90028 000283F1
	v_add_u32_e32 v241, 64, v241                               // 000000023764: 69E3E2C0
	s_nop 0                                                    // 000000023768: BF800000
	v_cndmask_b32_e64 v153, v64, v153, s[40:41]                // 00000002376C: D1000099 00A33340
	v_cmp_lt_u32_e64 s[40:41], v242, v65                       // 000000023774: D0C90028 000283F2
	v_add_u32_e32 v242, 64, v242                               // 00000002377C: 69E5E4C0
	s_nop 0                                                    // 000000023780: BF800000
	v_cndmask_b32_e64 v154, v64, v154, s[40:41]                // 000000023784: D100009A 00A33540
	v_cmp_lt_u32_e64 s[40:41], v243, v65                       // 00000002378C: D0C90028 000283F3
	v_add_u32_e32 v243, 64, v243                               // 000000023794: 69E7E6C0
	s_nop 0                                                    // 000000023798: BF800000
	v_cndmask_b32_e64 v155, v64, v155, s[40:41]                // 00000002379C: D100009B 00A33740
	v_cmp_lt_u32_e64 s[40:41], v240, v65                       // 0000000237A4: D0C90028 000283F0
	v_add_u32_e32 v240, 64, v240                               // 0000000237AC: 69E1E0C0
	s_nop 0                                                    // 0000000237B0: BF800000
	v_cndmask_b32_e64 v156, v64, v156, s[40:41]                // 0000000237B4: D100009C 00A33940
	v_cmp_lt_u32_e64 s[40:41], v241, v65                       // 0000000237BC: D0C90028 000283F1
	v_add_u32_e32 v241, 64, v241                               // 0000000237C4: 69E3E2C0
	s_nop 0                                                    // 0000000237C8: BF800000
	v_cndmask_b32_e64 v157, v64, v157, s[40:41]                // 0000000237CC: D100009D 00A33B40
	v_cmp_lt_u32_e64 s[40:41], v242, v65                       // 0000000237D4: D0C90028 000283F2
	v_add_u32_e32 v242, 64, v242                               // 0000000237DC: 69E5E4C0
	s_nop 0                                                    // 0000000237E0: BF800000
	v_cndmask_b32_e64 v158, v64, v158, s[40:41]                // 0000000237E4: D100009E 00A33D40
	v_cmp_lt_u32_e64 s[40:41], v243, v65                       // 0000000237EC: D0C90028 000283F3
	v_add_u32_e32 v243, 64, v243                               // 0000000237F4: 69E7E6C0
	s_nop 0                                                    // 0000000237F8: BF800000
	v_cndmask_b32_e64 v159, v64, v159, s[40:41]                // 0000000237FC: D100009F 00A33F40
	v_mov_b32_e32 v48, v144                                    // 000000023804: 7E600390
	v_max3_f32 v48, v144, v145, v48                            // 000000023808: D1D30030 04C32390
	v_max3_f32 v48, v146, v147, v48                            // 000000023810: D1D30030 04C32792
	v_max3_f32 v48, v148, v149, v48                            // 000000023818: D1D30030 04C32B94
	v_max3_f32 v48, v150, v151, v48                            // 000000023820: D1D30030 04C32F96
	v_max3_f32 v48, v152, v153, v48                            // 000000023828: D1D30030 04C33398
	v_max3_f32 v48, v154, v155, v48                            // 000000023830: D1D30030 04C3379A
	v_max3_f32 v48, v156, v157, v48                            // 000000023838: D1D30030 04C33B9C
	v_max3_f32 v48, v158, v159, v48                            // 000000023840: D1D30030 04C33F9E
	ds_write_b32 v8, v48 offset:16896                          // 000000023848: D81A4200 00003008
	v_mul_f32_e32 v224, v51, v224                              // 000000023850: 0BC1C133
	v_mul_f32_e32 v225, v51, v225                              // 000000023854: 0BC3C333
	v_mul_f32_e32 v226, v51, v226                              // 000000023858: 0BC5C533
	v_mul_f32_e32 v227, v51, v227                              // 00000002385C: 0BC7C733
	v_mul_f32_e32 v228, v51, v228                              // 000000023860: 0BC9C933
	v_mul_f32_e32 v229, v51, v229                              // 000000023864: 0BCBCB33
	v_mul_f32_e32 v230, v51, v230                              // 000000023868: 0BCDCD33
	v_mul_f32_e32 v231, v51, v231                              // 00000002386C: 0BCFCF33
	s_waitcnt lgkmcnt(0)                                       // 000000023870: BF8CC07F
	s_barrier                                                  // 000000023874: BF8A0000
	ds_read_b32 v64, v7 offset:16896                           // 000000023878: D86C4200 40000007
	ds_read_b32 v65, v7 offset:16960                           // 000000023880: D86C4240 41000007
	ds_read_b32 v66, v7 offset:17024                           // 000000023888: D86C4280 42000007
	ds_read_b32 v67, v7 offset:17088                           // 000000023890: D86C42C0 43000007
	ds_read_b32 v68, v7 offset:17152                           // 000000023898: D86C4300 44000007
	ds_read_b32 v69, v7 offset:17216                           // 0000000238A0: D86C4340 45000007
	ds_read_b32 v70, v7 offset:17280                           // 0000000238A8: D86C4380 46000007
	ds_read_b32 v71, v7 offset:17344                           // 0000000238B0: D86C43C0 47000007
	ds_read_b32 v72, v7 offset:17408                           // 0000000238B8: D86C4400 48000007
	ds_read_b32 v73, v7 offset:17472                           // 0000000238C0: D86C4440 49000007
	ds_read_b32 v74, v7 offset:17536                           // 0000000238C8: D86C4480 4A000007
	ds_read_b32 v75, v7 offset:17600                           // 0000000238D0: D86C44C0 4B000007
	ds_read_b32 v76, v7 offset:17664                           // 0000000238D8: D86C4500 4C000007
	ds_read_b32 v77, v7 offset:17728                           // 0000000238E0: D86C4540 4D000007
	ds_read_b32 v78, v7 offset:17792                           // 0000000238E8: D86C4580 4E000007
	ds_read_b32 v79, v7 offset:17856                           // 0000000238F0: D86C45C0 4F000007
	v_mul_f32_e32 v192, v46, v192                              // 0000000238F8: 0B81812E
	v_mul_f32_e32 v193, v46, v193                              // 0000000238FC: 0B83832E
	v_mul_f32_e32 v194, v46, v194                              // 000000023900: 0B85852E
	v_mul_f32_e32 v195, v46, v195                              // 000000023904: 0B87872E
	v_mul_f32_e32 v196, v46, v196                              // 000000023908: 0B89892E
	v_mul_f32_e32 v197, v46, v197                              // 00000002390C: 0B8B8B2E
	v_mul_f32_e32 v198, v46, v198                              // 000000023910: 0B8D8D2E
	v_mul_f32_e32 v199, v46, v199                              // 000000023914: 0B8F8F2E
	s_waitcnt lgkmcnt(0)                                       // 000000023918: BF8CC07F
	v_max3_f32 v48, v64, v65, v48                              // 00000002391C: D1D30030 04C28340
	v_max3_f32 v48, v66, v67, v48                              // 000000023924: D1D30030 04C28742
	v_max3_f32 v48, v68, v69, v48                              // 00000002392C: D1D30030 04C28B44
	v_max3_f32 v48, v70, v71, v48                              // 000000023934: D1D30030 04C28F46
	v_max3_f32 v48, v72, v73, v48                              // 00000002393C: D1D30030 04C29348
	v_max3_f32 v48, v74, v75, v48                              // 000000023944: D1D30030 04C2974A
	v_max3_f32 v48, v76, v77, v48                              // 00000002394C: D1D30030 04C29B4C
	v_max3_f32 v48, v78, v79, v48                              // 000000023954: D1D30030 04C29F4E
	v_mov_b32_e32 v64, 0xff800000                              // 00000002395C: 7E8002FF FF800000
	v_cmp_eq_u32_e64 s[40:41], v64, v13                        // 000000023964: D0CA0028 00021B40
	s_nop 1                                                    // 00000002396C: BF800001
	v_max_f32_e32 v15, v48, v13                                // 000000023970: 161E1B30
	v_mul_f32_e32 v53, s64, v15                                // 000000023974: 0A6A1E40
	v_fma_f32 v144, v144, s64, -v53                            // 000000023978: D1CB0090 84D48190
	v_fma_f32 v145, v145, s64, -v53                            // 000000023980: D1CB0091 84D48191
	v_fma_f32 v146, v146, s64, -v53                            // 000000023988: D1CB0092 84D48192
	v_fma_f32 v147, v147, s64, -v53                            // 000000023990: D1CB0093 84D48193
	v_fma_f32 v148, v148, s64, -v53                            // 000000023998: D1CB0094 84D48194
	v_fma_f32 v149, v149, s64, -v53                            // 0000000239A0: D1CB0095 84D48195
	v_fma_f32 v150, v150, s64, -v53                            // 0000000239A8: D1CB0096 84D48196
	v_fma_f32 v151, v151, s64, -v53                            // 0000000239B0: D1CB0097 84D48197
	v_fma_f32 v152, v152, s64, -v53                            // 0000000239B8: D1CB0098 84D48198
	v_fma_f32 v153, v153, s64, -v53                            // 0000000239C0: D1CB0099 84D48199
	v_fma_f32 v154, v154, s64, -v53                            // 0000000239C8: D1CB009A 84D4819A
	v_fma_f32 v155, v155, s64, -v53                            // 0000000239D0: D1CB009B 84D4819B
	v_fma_f32 v156, v156, s64, -v53                            // 0000000239D8: D1CB009C 84D4819C
	v_fma_f32 v157, v157, s64, -v53                            // 0000000239E0: D1CB009D 84D4819D
	v_fma_f32 v158, v158, s64, -v53                            // 0000000239E8: D1CB009E 84D4819E
	v_fma_f32 v159, v159, s64, -v53                            // 0000000239F0: D1CB009F 84D4819F
	v_exp_f32_e32 v144, v144                                   // 0000000239F8: 7F204190
	v_exp_f32_e32 v145, v145                                   // 0000000239FC: 7F224191
	v_exp_f32_e32 v146, v146                                   // 000000023A00: 7F244192
	v_exp_f32_e32 v147, v147                                   // 000000023A04: 7F264193
	v_exp_f32_e32 v148, v148                                   // 000000023A08: 7F284194
	v_exp_f32_e32 v149, v149                                   // 000000023A0C: 7F2A4195
	v_exp_f32_e32 v150, v150                                   // 000000023A10: 7F2C4196
	v_exp_f32_e32 v151, v151                                   // 000000023A14: 7F2E4197
	v_exp_f32_e32 v152, v152                                   // 000000023A18: 7F304198
	v_exp_f32_e32 v153, v153                                   // 000000023A1C: 7F324199
	v_exp_f32_e32 v154, v154                                   // 000000023A20: 7F34419A
	v_exp_f32_e32 v155, v155                                   // 000000023A24: 7F36419B
	v_exp_f32_e32 v156, v156                                   // 000000023A28: 7F38419C
	v_exp_f32_e32 v157, v157                                   // 000000023A2C: 7F3A419D
	v_exp_f32_e32 v158, v158                                   // 000000023A30: 7F3C419E
	v_exp_f32_e32 v159, v159                                   // 000000023A34: 7F3E419F
	v_mul_f32_dpp v240, v252, v144 quad_perm:[0,0,0,0] row_mask:0xf bank_mask:0xf// 000000023A38: 0BE120FA FF0000FC
	v_mul_f32_dpp v241, v252, v145 quad_perm:[1,1,1,1] row_mask:0xf bank_mask:0xf// 000000023A40: 0BE322FA FF0055FC
	v_mul_f32_dpp v242, v252, v146 quad_perm:[2,2,2,2] row_mask:0xf bank_mask:0xf// 000000023A48: 0BE524FA FF00AAFC
	v_mul_f32_dpp v243, v252, v147 quad_perm:[3,3,3,3] row_mask:0xf bank_mask:0xf// 000000023A50: 0BE726FA FF00FFFC
	v_mul_f32_dpp v244, v253, v148 quad_perm:[0,0,0,0] row_mask:0xf bank_mask:0xf// 000000023A58: 0BE928FA FF0000FD
	v_mul_f32_dpp v245, v253, v149 quad_perm:[1,1,1,1] row_mask:0xf bank_mask:0xf// 000000023A60: 0BEB2AFA FF0055FD
	v_mul_f32_dpp v246, v253, v150 quad_perm:[2,2,2,2] row_mask:0xf bank_mask:0xf// 000000023A68: 0BED2CFA FF00AAFD
	v_mul_f32_dpp v247, v253, v151 quad_perm:[3,3,3,3] row_mask:0xf bank_mask:0xf// 000000023A70: 0BEF2EFA FF00FFFD
	v_mul_f32_dpp v248, v254, v152 quad_perm:[0,0,0,0] row_mask:0xf bank_mask:0xf// 000000023A78: 0BF130FA FF0000FE
	v_mul_f32_dpp v249, v254, v153 quad_perm:[1,1,1,1] row_mask:0xf bank_mask:0xf// 000000023A80: 0BF332FA FF0055FE
	v_mul_f32_dpp v250, v254, v154 quad_perm:[2,2,2,2] row_mask:0xf bank_mask:0xf// 000000023A88: 0BF534FA FF00AAFE
	v_mul_f32_dpp v251, v254, v155 quad_perm:[3,3,3,3] row_mask:0xf bank_mask:0xf// 000000023A90: 0BF736FA FF00FFFE
	v_mul_f32_dpp v252, v255, v156 quad_perm:[0,0,0,0] row_mask:0xf bank_mask:0xf// 000000023A98: 0BF938FA FF0000FF
	v_mul_f32_dpp v253, v255, v157 quad_perm:[1,1,1,1] row_mask:0xf bank_mask:0xf// 000000023AA0: 0BFB3AFA FF0055FF
	v_mul_f32_dpp v254, v255, v158 quad_perm:[2,2,2,2] row_mask:0xf bank_mask:0xf// 000000023AA8: 0BFD3CFA FF00AAFF
	v_mul_f32_dpp v255, v255, v159 quad_perm:[3,3,3,3] row_mask:0xf bank_mask:0xf// 000000023AB0: 0BFF3EFA FF00FFFF
	v_mov_b32_e32 v48, 0x358637bd                              // 000000023AB8: 7E6002FF 358637BD
	v_max3_f32 v48, |v240|, |v241|, v48                        // 000000023AC0: D1D30330 04C3E3F0
	v_max3_f32 v48, |v242|, |v243|, v48                        // 000000023AC8: D1D30330 04C3E7F2
	v_max3_f32 v48, |v244|, |v245|, v48                        // 000000023AD0: D1D30330 04C3EBF4
	v_max3_f32 v48, |v246|, |v247|, v48                        // 000000023AD8: D1D30330 04C3EFF6
	v_max3_f32 v48, |v248|, |v249|, v48                        // 000000023AE0: D1D30330 04C3F3F8
	v_max3_f32 v48, |v250|, |v251|, v48                        // 000000023AE8: D1D30330 04C3F7FA
	v_max3_f32 v48, |v252|, |v253|, v48                        // 000000023AF0: D1D30330 04C3FBFC
	v_max3_f32 v48, |v254|, |v255|, v48                        // 000000023AF8: D1D30330 04C3FFFE
	ds_write_b32 v8, v48 offset:20992                          // 000000023B00: D81A5200 00003008
	v_sub_f32_e32 v51, v13, v15                                // 000000023B08: 04661F0D
	v_cndmask_b32_e64 v51, v51, 0, s[40:41]                    // 000000023B0C: D1000033 00A10133
	v_mov_b32_e32 v13, v15                                     // 000000023B14: 7E1A030F
	v_mul_f32_e32 v51, s64, v51                                // 000000023B18: 0A666640
	v_exp_f32_e32 v51, v51                                     // 000000023B1C: 7E664133
	s_waitcnt lgkmcnt(0)                                       // 000000023B20: BF8CC07F
	s_barrier                                                  // 000000023B24: BF8A0000
	ds_read_b32 v64, v7 offset:20992                           // 000000023B28: D86C5200 40000007
	ds_read_b32 v65, v7 offset:21056                           // 000000023B30: D86C5240 41000007
	ds_read_b32 v66, v7 offset:21120                           // 000000023B38: D86C5280 42000007
	ds_read_b32 v67, v7 offset:21184                           // 000000023B40: D86C52C0 43000007
	ds_read_b32 v68, v7 offset:21248                           // 000000023B48: D86C5300 44000007
	ds_read_b32 v69, v7 offset:21312                           // 000000023B50: D86C5340 45000007
	ds_read_b32 v70, v7 offset:21376                           // 000000023B58: D86C5380 46000007
	ds_read_b32 v71, v7 offset:21440                           // 000000023B60: D86C53C0 47000007
	ds_read_b32 v72, v7 offset:21504                           // 000000023B68: D86C5400 48000007
	ds_read_b32 v73, v7 offset:21568                           // 000000023B70: D86C5440 49000007
	ds_read_b32 v74, v7 offset:21632                           // 000000023B78: D86C5480 4A000007
	ds_read_b32 v75, v7 offset:21696                           // 000000023B80: D86C54C0 4B000007
	ds_read_b32 v76, v7 offset:21760                           // 000000023B88: D86C5500 4C000007
	ds_read_b32 v77, v7 offset:21824                           // 000000023B90: D86C5540 4D000007
	ds_read_b32 v78, v7 offset:21888                           // 000000023B98: D86C5580 4E000007
	ds_read_b32 v79, v7 offset:21952                           // 000000023BA0: D86C55C0 4F000007
	v_mul_f32_e32 v40, v51, v40                                // 000000023BA8: 0A505133
	v_mov_b32_e32 v15, v144                                    // 000000023BAC: 7E1E0390
	v_add_f32_e32 v15, v145, v15                               // 000000023BB0: 021E1F91
	v_add_f32_e32 v15, v146, v15                               // 000000023BB4: 021E1F92
	v_add_f32_e32 v15, v147, v15                               // 000000023BB8: 021E1F93
	v_add_f32_e32 v15, v148, v15                               // 000000023BBC: 021E1F94
	v_add_f32_e32 v15, v149, v15                               // 000000023BC0: 021E1F95
	v_add_f32_e32 v15, v150, v15                               // 000000023BC4: 021E1F96
	v_add_f32_e32 v15, v151, v15                               // 000000023BC8: 021E1F97
	v_add_f32_e32 v15, v152, v15                               // 000000023BCC: 021E1F98
	v_add_f32_e32 v15, v153, v15                               // 000000023BD0: 021E1F99
	v_add_f32_e32 v15, v154, v15                               // 000000023BD4: 021E1F9A
	v_add_f32_e32 v15, v155, v15                               // 000000023BD8: 021E1F9B
	v_add_f32_e32 v15, v156, v15                               // 000000023BDC: 021E1F9C
	v_add_f32_e32 v15, v157, v15                               // 000000023BE0: 021E1F9D
	v_add_f32_e32 v15, v158, v15                               // 000000023BE4: 021E1F9E
	v_add_f32_e32 v15, v159, v15                               // 000000023BE8: 021E1F9F
	v_add_f32_e32 v40, v15, v40                                // 000000023BEC: 0250510F
	s_waitcnt lgkmcnt(0)                                       // 000000023BF0: BF8CC07F
	v_max3_f32 v48, |v64|, |v65|, v48                          // 000000023BF4: D1D30330 04C28340
	v_max3_f32 v48, |v66|, |v67|, v48                          // 000000023BFC: D1D30330 04C28742
	v_max3_f32 v48, |v68|, |v69|, v48                          // 000000023C04: D1D30330 04C28B44
	v_max3_f32 v48, |v70|, |v71|, v48                          // 000000023C0C: D1D30330 04C28F46
	v_max3_f32 v48, |v72|, |v73|, v48                          // 000000023C14: D1D30330 04C29348
	v_max3_f32 v48, |v74|, |v75|, v48                          // 000000023C1C: D1D30330 04C2974A
	v_max3_f32 v48, |v76|, |v77|, v48                          // 000000023C24: D1D30330 04C29B4C
	v_max3_f32 v48, |v78|, |v79|, v48                          // 000000023C2C: D1D30330 04C29F4E
	s_nop 2                                                    // 000000023C34: BF800002
	v_rcp_f32_e32 v48, v48                                     // 000000023C38: 7E604530
	s_nop 1                                                    // 000000023C3C: BF800001
	v_mul_f32_e32 v48, 0x43e00000, v48                         // 000000023C40: 0A6060FF 43E00000
	v_mul_f32_e32 v144, v48, v240                              // 000000023C48: 0B21E130
	v_mul_f32_e32 v145, v48, v241                              // 000000023C4C: 0B23E330
	v_mul_f32_e32 v146, v48, v242                              // 000000023C50: 0B25E530
	v_mul_f32_e32 v147, v48, v243                              // 000000023C54: 0B27E730
	v_mul_f32_e32 v148, v48, v244                              // 000000023C58: 0B29E930
	v_mul_f32_e32 v149, v48, v245                              // 000000023C5C: 0B2BEB30
	v_mul_f32_e32 v150, v48, v246                              // 000000023C60: 0B2DED30
	v_mul_f32_e32 v151, v48, v247                              // 000000023C64: 0B2FEF30
	v_mul_f32_e32 v152, v48, v248                              // 000000023C68: 0B31F130
	v_mul_f32_e32 v153, v48, v249                              // 000000023C6C: 0B33F330
	v_mul_f32_e32 v154, v48, v250                              // 000000023C70: 0B35F530
	v_mul_f32_e32 v155, v48, v251                              // 000000023C74: 0B37F730
	v_mul_f32_e32 v156, v48, v252                              // 000000023C78: 0B39F930
	v_mul_f32_e32 v157, v48, v253                              // 000000023C7C: 0B3BFB30
	v_mul_f32_e32 v158, v48, v254                              // 000000023C80: 0B3DFD30
	v_mul_f32_e32 v159, v48, v255                              // 000000023C84: 0B3FFF30
	v_cvt_pk_fp8_f32 v144, v144, v145                          // 000000023C88: D2A20090 00032390
	v_cvt_pk_fp8_f32 v144, v146, v147 op_sel:[0,0,1]           // 000000023C90: D2A24090 00032792
	v_cvt_pk_fp8_f32 v145, v148, v149                          // 000000023C98: D2A20091 00032B94
	v_cvt_pk_fp8_f32 v145, v150, v151 op_sel:[0,0,1]           // 000000023CA0: D2A24091 00032F96
	v_cvt_pk_fp8_f32 v146, v152, v153                          // 000000023CA8: D2A20092 00033398
	v_cvt_pk_fp8_f32 v146, v154, v155 op_sel:[0,0,1]           // 000000023CB0: D2A24092 0003379A
	v_cvt_pk_fp8_f32 v147, v156, v157                          // 000000023CB8: D2A20093 00033B9C
	v_cvt_pk_fp8_f32 v147, v158, v159 op_sel:[0,0,1]           // 000000023CC0: D2A24093 00033F9E
	ds_write_b32 v10, v144 offset:33280                        // 000000023CC8: D81A8200 0000900A
	ds_write_b32 v10, v145 offset:34304                        // 000000023CD0: D81A8600 0000910A
	ds_write_b32 v10, v146 offset:35328                        // 000000023CD8: D81A8A00 0000920A
	ds_write_b32 v10, v147 offset:36352                        // 000000023CE0: D81A8E00 0000930A
	v_add_f32_e32 v224, v224, v192                             // 000000023CE8: 03C181E0
	v_add_f32_e32 v225, v225, v193                             // 000000023CEC: 03C383E1
	v_add_f32_e32 v226, v226, v194                             // 000000023CF0: 03C585E2
	v_add_f32_e32 v227, v227, v195                             // 000000023CF4: 03C787E3
	v_add_f32_e32 v228, v228, v196                             // 000000023CF8: 03C989E4
	v_add_f32_e32 v229, v229, v197                             // 000000023CFC: 03CB8BE5
	v_add_f32_e32 v230, v230, v198                             // 000000023D00: 03CD8DE6
	v_add_f32_e32 v231, v231, v199                             // 000000023D04: 03CF8FE7
	v_rcp_f32_e32 v46, v48                                     // 000000023D08: 7E5C4530
	s_waitcnt lgkmcnt(0)                                       // 000000023D0C: BF8CC07F
	s_barrier                                                  // 000000023D10: BF8A0000
	ds_read_b64 v[144:145], v9 offset:33280                    // 000000023D14: D8EC8200 90000009
	ds_read_b64 v[146:147], v9 offset:33408                    // 000000023D1C: D8EC8280 92000009
	ds_read_b64 v[148:149], v9 offset:34304                    // 000000023D24: D8EC8600 94000009
	ds_read_b64 v[150:151], v9 offset:34432                    // 000000023D2C: D8EC8680 96000009
	ds_read_b64 v[152:153], v9 offset:35328                    // 000000023D34: D8EC8A00 98000009
	ds_read_b64 v[154:155], v9 offset:35456                    // 000000023D3C: D8EC8A80 9A000009
	ds_read_b64 v[156:157], v9 offset:36352                    // 000000023D44: D8EC8E00 9C000009
	ds_read_b64 v[158:159], v9 offset:36480                    // 000000023D4C: D8EC8E80 9E000009
	v_mov_b32_dpp v64, v42 row_shr:4 row_mask:0xf bank_mask:0xf// 000000023D54: 7E8002FA FF01142A
	v_mov_b32_dpp v65, v42 row_shl:4 row_mask:0xf bank_mask:0xf// 000000023D5C: 7E8202FA FF01042A
	v_cndmask_b32_e64 v248, v42, v64, s[44:45]                 // 000000023D64: D10000F8 00B2812A
	v_cndmask_b32_e64 v249, v65, v42, s[44:45]                 // 000000023D6C: D10000F9 00B25541
	v_mov_b32_dpp v64, v248 row_shr:8 row_mask:0xf bank_mask:0xf// 000000023D74: 7E8002FA FF0118F8
	v_mov_b32_dpp v65, v248 row_shl:8 row_mask:0xf bank_mask:0xf// 000000023D7C: 7E8202FA FF0108F8
	v_mov_b32_dpp v66, v249 row_shr:8 row_mask:0xf bank_mask:0xf// 000000023D84: 7E8402FA FF0118F9
	v_mov_b32_dpp v67, v249 row_shl:8 row_mask:0xf bank_mask:0xf// 000000023D8C: 7E8602FA FF0108F9
	v_mov_b32_e32 v68, v248                                    // 000000023D94: 7E8803F8
	v_mov_b32_e32 v69, v249                                    // 000000023D98: 7E8A03F9
	v_cndmask_b32_e64 v248, v68, v64, s[42:43]                 // 000000023D9C: D10000F8 00AA8144
	v_cndmask_b32_e64 v250, v68, v65, s[78:79]                 // 000000023DA4: D10000FA 013A8344
	v_cndmask_b32_e64 v249, v69, v66, s[42:43]                 // 000000023DAC: D10000F9 00AA8545
	v_cndmask_b32_e64 v251, v69, v67, s[78:79]                 // 000000023DB4: D10000FB 013A8745
	v_mov_b32_dpp v64, v57 row_shr:4 row_mask:0xf bank_mask:0xf// 000000023DBC: 7E8002FA FF011439
	v_mov_b32_dpp v65, v57 row_shl:4 row_mask:0xf bank_mask:0xf// 000000023DC4: 7E8202FA FF010439
	v_cndmask_b32_e64 v252, v57, v64, s[44:45]                 // 000000023DCC: D10000FC 00B28139
	v_cndmask_b32_e64 v253, v65, v57, s[44:45]                 // 000000023DD4: D10000FD 00B27341
	v_mov_b32_dpp v64, v252 row_shr:8 row_mask:0xf bank_mask:0xf// 000000023DDC: 7E8002FA FF0118FC
	v_mov_b32_dpp v65, v252 row_shl:8 row_mask:0xf bank_mask:0xf// 000000023DE4: 7E8202FA FF0108FC
	v_mov_b32_dpp v66, v253 row_shr:8 row_mask:0xf bank_mask:0xf// 000000023DEC: 7E8402FA FF0118FD
	v_mov_b32_dpp v67, v253 row_shl:8 row_mask:0xf bank_mask:0xf// 000000023DF4: 7E8602FA FF0108FD
	v_mov_b32_e32 v68, v252                                    // 000000023DFC: 7E8803FC
	v_mov_b32_e32 v69, v253                                    // 000000023E00: 7E8A03FD
	v_cndmask_b32_e64 v252, v68, v64, s[42:43]                 // 000000023E04: D10000FC 00AA8144
	v_cndmask_b32_e64 v254, v68, v65, s[78:79]                 // 000000023E0C: D10000FE 013A8344
	v_cndmask_b32_e64 v253, v69, v66, s[42:43]                 // 000000023E14: D10000FD 00AA8545
	v_cndmask_b32_e64 v255, v69, v67, s[78:79]                 // 000000023E1C: D10000FF 013A8745
	v_mul_f32_e32 v160, v21, v160                              // 000000023E24: 0B414115
	v_mul_f32_e32 v161, v21, v161                              // 000000023E28: 0B434315
	v_mul_f32_e32 v162, v21, v162                              // 000000023E2C: 0B454515
	v_mul_f32_e32 v163, v21, v163                              // 000000023E30: 0B474715
	v_mul_f32_e32 v164, v21, v164                              // 000000023E34: 0B494915
	v_mul_f32_e32 v165, v21, v165                              // 000000023E38: 0B4B4B15
	v_mul_f32_e32 v166, v21, v166                              // 000000023E3C: 0B4D4D15
	v_mul_f32_e32 v167, v21, v167                              // 000000023E40: 0B4F4F15
	v_mul_f32_e32 v168, v21, v168                              // 000000023E44: 0B515115
	v_mul_f32_e32 v169, v21, v169                              // 000000023E48: 0B535315
	v_mul_f32_e32 v170, v21, v170                              // 000000023E4C: 0B555515
	v_mul_f32_e32 v171, v21, v171                              // 000000023E50: 0B575715
	v_mul_f32_e32 v172, v21, v172                              // 000000023E54: 0B595915
	v_mul_f32_e32 v173, v21, v173                              // 000000023E58: 0B5B5B15
	v_mul_f32_e32 v174, v21, v174                              // 000000023E5C: 0B5D5D15
	v_mul_f32_e32 v175, v21, v175                              // 000000023E60: 0B5F5F15
	v_mul_f32_dpp v160, v248, v160 quad_perm:[0,0,0,0] row_mask:0xf bank_mask:0xf// 000000023E64: 0B4140FA FF0000F8
	v_mul_f32_dpp v161, v248, v161 quad_perm:[1,1,1,1] row_mask:0xf bank_mask:0xf// 000000023E6C: 0B4342FA FF0055F8
	v_mul_f32_dpp v162, v248, v162 quad_perm:[2,2,2,2] row_mask:0xf bank_mask:0xf// 000000023E74: 0B4544FA FF00AAF8
	v_mul_f32_dpp v163, v248, v163 quad_perm:[3,3,3,3] row_mask:0xf bank_mask:0xf// 000000023E7C: 0B4746FA FF00FFF8
	v_mul_f32_dpp v164, v249, v164 quad_perm:[0,0,0,0] row_mask:0xf bank_mask:0xf// 000000023E84: 0B4948FA FF0000F9
	v_mul_f32_dpp v165, v249, v165 quad_perm:[1,1,1,1] row_mask:0xf bank_mask:0xf// 000000023E8C: 0B4B4AFA FF0055F9
	v_mul_f32_dpp v166, v249, v166 quad_perm:[2,2,2,2] row_mask:0xf bank_mask:0xf// 000000023E94: 0B4D4CFA FF00AAF9
	v_mul_f32_dpp v167, v249, v167 quad_perm:[3,3,3,3] row_mask:0xf bank_mask:0xf// 000000023E9C: 0B4F4EFA FF00FFF9
	v_mul_f32_dpp v168, v250, v168 quad_perm:[0,0,0,0] row_mask:0xf bank_mask:0xf// 000000023EA4: 0B5150FA FF0000FA
	v_mul_f32_dpp v169, v250, v169 quad_perm:[1,1,1,1] row_mask:0xf bank_mask:0xf// 000000023EAC: 0B5352FA FF0055FA
	v_mul_f32_dpp v170, v250, v170 quad_perm:[2,2,2,2] row_mask:0xf bank_mask:0xf// 000000023EB4: 0B5554FA FF00AAFA
	v_mul_f32_dpp v171, v250, v171 quad_perm:[3,3,3,3] row_mask:0xf bank_mask:0xf// 000000023EBC: 0B5756FA FF00FFFA
	v_mul_f32_dpp v172, v251, v172 quad_perm:[0,0,0,0] row_mask:0xf bank_mask:0xf// 000000023EC4: 0B5958FA FF0000FB
	v_mul_f32_dpp v173, v251, v173 quad_perm:[1,1,1,1] row_mask:0xf bank_mask:0xf// 000000023ECC: 0B5B5AFA FF0055FB
	v_mul_f32_dpp v174, v251, v174 quad_perm:[2,2,2,2] row_mask:0xf bank_mask:0xf// 000000023ED4: 0B5D5CFA FF00AAFB
	v_mul_f32_dpp v175, v251, v175 quad_perm:[3,3,3,3] row_mask:0xf bank_mask:0xf// 000000023EDC: 0B5F5EFA FF00FFFB
	s_and_b32 s60, s72, 0xff                                   // 000000023EE4: 863CFF48 000000FF
	v_mov_b32_e32 v65, s60                                     // 000000023EEC: 7E82023C
	v_lshrrev_b32_e32 v240, 4, v0                              // 000000023EF0: 21E00084
	v_mul_i32_i24_e32 v240, 4, v240                            // 000000023EF4: 0DE1E084
	s_mul_i32 s60, s7, 16                                      // 000000023EF8: 923C9007
	v_add_u32_e32 v240, s60, v240                              // 000000023EFC: 69E1E03C
	v_add_u32_e32 v241, 1, v240                                // 000000023F00: 69E3E081
	v_add_u32_e32 v242, 2, v240                                // 000000023F04: 69E5E082
	v_add_u32_e32 v243, 3, v240                                // 000000023F08: 69E7E083
	v_mov_b32_e32 v64, 0xff800000                              // 000000023F0C: 7E8002FF FF800000
	v_cmp_lt_u32_e64 s[40:41], v240, v65                       // 000000023F14: D0C90028 000283F0
	v_add_u32_e32 v240, 64, v240                               // 000000023F1C: 69E1E0C0
	s_nop 0                                                    // 000000023F20: BF800000
	v_cndmask_b32_e64 v160, v64, v160, s[40:41]                // 000000023F24: D10000A0 00A34140
	v_cmp_lt_u32_e64 s[40:41], v241, v65                       // 000000023F2C: D0C90028 000283F1
	v_add_u32_e32 v241, 64, v241                               // 000000023F34: 69E3E2C0
	s_nop 0                                                    // 000000023F38: BF800000
	v_cndmask_b32_e64 v161, v64, v161, s[40:41]                // 000000023F3C: D10000A1 00A34340
	v_cmp_lt_u32_e64 s[40:41], v242, v65                       // 000000023F44: D0C90028 000283F2
	v_add_u32_e32 v242, 64, v242                               // 000000023F4C: 69E5E4C0
	s_nop 0                                                    // 000000023F50: BF800000
	v_cndmask_b32_e64 v162, v64, v162, s[40:41]                // 000000023F54: D10000A2 00A34540
	v_cmp_lt_u32_e64 s[40:41], v243, v65                       // 000000023F5C: D0C90028 000283F3
	v_add_u32_e32 v243, 64, v243                               // 000000023F64: 69E7E6C0
	s_nop 0                                                    // 000000023F68: BF800000
	v_cndmask_b32_e64 v163, v64, v163, s[40:41]                // 000000023F6C: D10000A3 00A34740
	v_cmp_lt_u32_e64 s[40:41], v240, v65                       // 000000023F74: D0C90028 000283F0
	v_add_u32_e32 v240, 64, v240                               // 000000023F7C: 69E1E0C0
	s_nop 0                                                    // 000000023F80: BF800000
	v_cndmask_b32_e64 v164, v64, v164, s[40:41]                // 000000023F84: D10000A4 00A34940
	v_cmp_lt_u32_e64 s[40:41], v241, v65                       // 000000023F8C: D0C90028 000283F1
	v_add_u32_e32 v241, 64, v241                               // 000000023F94: 69E3E2C0
	s_nop 0                                                    // 000000023F98: BF800000
	v_cndmask_b32_e64 v165, v64, v165, s[40:41]                // 000000023F9C: D10000A5 00A34B40
	v_cmp_lt_u32_e64 s[40:41], v242, v65                       // 000000023FA4: D0C90028 000283F2
	v_add_u32_e32 v242, 64, v242                               // 000000023FAC: 69E5E4C0
	s_nop 0                                                    // 000000023FB0: BF800000
	v_cndmask_b32_e64 v166, v64, v166, s[40:41]                // 000000023FB4: D10000A6 00A34D40
	v_cmp_lt_u32_e64 s[40:41], v243, v65                       // 000000023FBC: D0C90028 000283F3
	v_add_u32_e32 v243, 64, v243                               // 000000023FC4: 69E7E6C0
	s_nop 0                                                    // 000000023FC8: BF800000
	v_cndmask_b32_e64 v167, v64, v167, s[40:41]                // 000000023FCC: D10000A7 00A34F40
	v_cmp_lt_u32_e64 s[40:41], v240, v65                       // 000000023FD4: D0C90028 000283F0
	v_add_u32_e32 v240, 64, v240                               // 000000023FDC: 69E1E0C0
	s_nop 0                                                    // 000000023FE0: BF800000
	v_cndmask_b32_e64 v168, v64, v168, s[40:41]                // 000000023FE4: D10000A8 00A35140
	v_cmp_lt_u32_e64 s[40:41], v241, v65                       // 000000023FEC: D0C90028 000283F1
	v_add_u32_e32 v241, 64, v241                               // 000000023FF4: 69E3E2C0
	s_nop 0                                                    // 000000023FF8: BF800000
	v_cndmask_b32_e64 v169, v64, v169, s[40:41]                // 000000023FFC: D10000A9 00A35340
	v_cmp_lt_u32_e64 s[40:41], v242, v65                       // 000000024004: D0C90028 000283F2
	v_add_u32_e32 v242, 64, v242                               // 00000002400C: 69E5E4C0
	s_nop 0                                                    // 000000024010: BF800000
	v_cndmask_b32_e64 v170, v64, v170, s[40:41]                // 000000024014: D10000AA 00A35540
	v_cmp_lt_u32_e64 s[40:41], v243, v65                       // 00000002401C: D0C90028 000283F3
	v_add_u32_e32 v243, 64, v243                               // 000000024024: 69E7E6C0
	s_nop 0                                                    // 000000024028: BF800000
	v_cndmask_b32_e64 v171, v64, v171, s[40:41]                // 00000002402C: D10000AB 00A35740
	v_cmp_lt_u32_e64 s[40:41], v240, v65                       // 000000024034: D0C90028 000283F0
	v_add_u32_e32 v240, 64, v240                               // 00000002403C: 69E1E0C0
	s_nop 0                                                    // 000000024040: BF800000
	v_cndmask_b32_e64 v172, v64, v172, s[40:41]                // 000000024044: D10000AC 00A35940
	v_cmp_lt_u32_e64 s[40:41], v241, v65                       // 00000002404C: D0C90028 000283F1
	v_add_u32_e32 v241, 64, v241                               // 000000024054: 69E3E2C0
	s_nop 0                                                    // 000000024058: BF800000
	v_cndmask_b32_e64 v173, v64, v173, s[40:41]                // 00000002405C: D10000AD 00A35B40
	v_cmp_lt_u32_e64 s[40:41], v242, v65                       // 000000024064: D0C90028 000283F2
	v_add_u32_e32 v242, 64, v242                               // 00000002406C: 69E5E4C0
	s_nop 0                                                    // 000000024070: BF800000
	v_cndmask_b32_e64 v174, v64, v174, s[40:41]                // 000000024074: D10000AE 00A35D40
	v_cmp_lt_u32_e64 s[40:41], v243, v65                       // 00000002407C: D0C90028 000283F3
	v_add_u32_e32 v243, 64, v243                               // 000000024084: 69E7E6C0
	s_nop 0                                                    // 000000024088: BF800000
	v_cndmask_b32_e64 v175, v64, v175, s[40:41]                // 00000002408C: D10000AF 00A35F40
	v_mov_b32_e32 v48, v160                                    // 000000024094: 7E6003A0
	v_max3_f32 v48, v160, v161, v48                            // 000000024098: D1D30030 04C343A0
	v_max3_f32 v48, v162, v163, v48                            // 0000000240A0: D1D30030 04C347A2
	v_max3_f32 v48, v164, v165, v48                            // 0000000240A8: D1D30030 04C34BA4
	v_max3_f32 v48, v166, v167, v48                            // 0000000240B0: D1D30030 04C34FA6
	v_max3_f32 v48, v168, v169, v48                            // 0000000240B8: D1D30030 04C353A8
	v_max3_f32 v48, v170, v171, v48                            // 0000000240C0: D1D30030 04C357AA
	v_max3_f32 v48, v172, v173, v48                            // 0000000240C8: D1D30030 04C35BAC
	v_max3_f32 v48, v174, v175, v48                            // 0000000240D0: D1D30030 04C35FAE
	ds_write_b32 v8, v48 offset:16896                          // 0000000240D8: D81A4200 00003008
	v_mul_f32_e32 v232, v52, v232                              // 0000000240E0: 0BD1D134
	v_mul_f32_e32 v233, v52, v233                              // 0000000240E4: 0BD3D334
	v_mul_f32_e32 v234, v52, v234                              // 0000000240E8: 0BD5D534
	v_mul_f32_e32 v235, v52, v235                              // 0000000240EC: 0BD7D734
	v_mul_f32_e32 v236, v52, v236                              // 0000000240F0: 0BD9D934
	v_mul_f32_e32 v237, v52, v237                              // 0000000240F4: 0BDBDB34
	v_mul_f32_e32 v238, v52, v238                              // 0000000240F8: 0BDDDD34
	v_mul_f32_e32 v239, v52, v239                              // 0000000240FC: 0BDFDF34
	s_waitcnt lgkmcnt(0)                                       // 000000024100: BF8CC07F
	s_barrier                                                  // 000000024104: BF8A0000
	ds_read_b32 v64, v7 offset:16896                           // 000000024108: D86C4200 40000007
	ds_read_b32 v65, v7 offset:16960                           // 000000024110: D86C4240 41000007
	ds_read_b32 v66, v7 offset:17024                           // 000000024118: D86C4280 42000007
	ds_read_b32 v67, v7 offset:17088                           // 000000024120: D86C42C0 43000007
	ds_read_b32 v68, v7 offset:17152                           // 000000024128: D86C4300 44000007
	ds_read_b32 v69, v7 offset:17216                           // 000000024130: D86C4340 45000007
	ds_read_b32 v70, v7 offset:17280                           // 000000024138: D86C4380 46000007
	ds_read_b32 v71, v7 offset:17344                           // 000000024140: D86C43C0 47000007
	ds_read_b32 v72, v7 offset:17408                           // 000000024148: D86C4400 48000007
	ds_read_b32 v73, v7 offset:17472                           // 000000024150: D86C4440 49000007
	ds_read_b32 v74, v7 offset:17536                           // 000000024158: D86C4480 4A000007
	ds_read_b32 v75, v7 offset:17600                           // 000000024160: D86C44C0 4B000007
	ds_read_b32 v76, v7 offset:17664                           // 000000024168: D86C4500 4C000007
	ds_read_b32 v77, v7 offset:17728                           // 000000024170: D86C4540 4D000007
	ds_read_b32 v78, v7 offset:17792                           // 000000024178: D86C4580 4E000007
	ds_read_b32 v79, v7 offset:17856                           // 000000024180: D86C45C0 4F000007
	v_mul_f32_e32 v200, v47, v200                              // 000000024188: 0B91912F
	v_mul_f32_e32 v201, v47, v201                              // 00000002418C: 0B93932F
	v_mul_f32_e32 v202, v47, v202                              // 000000024190: 0B95952F
	v_mul_f32_e32 v203, v47, v203                              // 000000024194: 0B97972F
	v_mul_f32_e32 v204, v47, v204                              // 000000024198: 0B99992F
	v_mul_f32_e32 v205, v47, v205                              // 00000002419C: 0B9B9B2F
	v_mul_f32_e32 v206, v47, v206                              // 0000000241A0: 0B9D9D2F
	v_mul_f32_e32 v207, v47, v207                              // 0000000241A4: 0B9F9F2F
	s_waitcnt lgkmcnt(0)                                       // 0000000241A8: BF8CC07F
	v_max3_f32 v48, v64, v65, v48                              // 0000000241AC: D1D30030 04C28340
	v_max3_f32 v48, v66, v67, v48                              // 0000000241B4: D1D30030 04C28742
	v_max3_f32 v48, v68, v69, v48                              // 0000000241BC: D1D30030 04C28B44
	v_max3_f32 v48, v70, v71, v48                              // 0000000241C4: D1D30030 04C28F46
	v_max3_f32 v48, v72, v73, v48                              // 0000000241CC: D1D30030 04C29348
	v_max3_f32 v48, v74, v75, v48                              // 0000000241D4: D1D30030 04C2974A
	v_max3_f32 v48, v76, v77, v48                              // 0000000241DC: D1D30030 04C29B4C
	v_max3_f32 v48, v78, v79, v48                              // 0000000241E4: D1D30030 04C29F4E
	v_mov_b32_e32 v64, 0xff800000                              // 0000000241EC: 7E8002FF FF800000
	v_cmp_eq_u32_e64 s[40:41], v64, v14                        // 0000000241F4: D0CA0028 00021D40
	s_nop 1                                                    // 0000000241FC: BF800001
	v_max_f32_e32 v15, v48, v14                                // 000000024200: 161E1D30
	v_mul_f32_e32 v53, s64, v15                                // 000000024204: 0A6A1E40
	v_fma_f32 v160, v160, s64, -v53                            // 000000024208: D1CB00A0 84D481A0
	v_fma_f32 v161, v161, s64, -v53                            // 000000024210: D1CB00A1 84D481A1
	v_fma_f32 v162, v162, s64, -v53                            // 000000024218: D1CB00A2 84D481A2
	v_fma_f32 v163, v163, s64, -v53                            // 000000024220: D1CB00A3 84D481A3
	v_fma_f32 v164, v164, s64, -v53                            // 000000024228: D1CB00A4 84D481A4
	v_fma_f32 v165, v165, s64, -v53                            // 000000024230: D1CB00A5 84D481A5
	v_fma_f32 v166, v166, s64, -v53                            // 000000024238: D1CB00A6 84D481A6
	v_fma_f32 v167, v167, s64, -v53                            // 000000024240: D1CB00A7 84D481A7
	v_fma_f32 v168, v168, s64, -v53                            // 000000024248: D1CB00A8 84D481A8
	v_fma_f32 v169, v169, s64, -v53                            // 000000024250: D1CB00A9 84D481A9
	v_fma_f32 v170, v170, s64, -v53                            // 000000024258: D1CB00AA 84D481AA
	v_fma_f32 v171, v171, s64, -v53                            // 000000024260: D1CB00AB 84D481AB
	v_fma_f32 v172, v172, s64, -v53                            // 000000024268: D1CB00AC 84D481AC
	v_fma_f32 v173, v173, s64, -v53                            // 000000024270: D1CB00AD 84D481AD
	v_fma_f32 v174, v174, s64, -v53                            // 000000024278: D1CB00AE 84D481AE
	v_fma_f32 v175, v175, s64, -v53                            // 000000024280: D1CB00AF 84D481AF
	v_exp_f32_e32 v160, v160                                   // 000000024288: 7F4041A0
	v_exp_f32_e32 v161, v161                                   // 00000002428C: 7F4241A1
	v_exp_f32_e32 v162, v162                                   // 000000024290: 7F4441A2
	v_exp_f32_e32 v163, v163                                   // 000000024294: 7F4641A3
	v_exp_f32_e32 v164, v164                                   // 000000024298: 7F4841A4
	v_exp_f32_e32 v165, v165                                   // 00000002429C: 7F4A41A5
	v_exp_f32_e32 v166, v166                                   // 0000000242A0: 7F4C41A6
	v_exp_f32_e32 v167, v167                                   // 0000000242A4: 7F4E41A7
	v_exp_f32_e32 v168, v168                                   // 0000000242A8: 7F5041A8
	v_exp_f32_e32 v169, v169                                   // 0000000242AC: 7F5241A9
	v_exp_f32_e32 v170, v170                                   // 0000000242B0: 7F5441AA
	v_exp_f32_e32 v171, v171                                   // 0000000242B4: 7F5641AB
	v_exp_f32_e32 v172, v172                                   // 0000000242B8: 7F5841AC
	v_exp_f32_e32 v173, v173                                   // 0000000242BC: 7F5A41AD
	v_exp_f32_e32 v174, v174                                   // 0000000242C0: 7F5C41AE
	v_exp_f32_e32 v175, v175                                   // 0000000242C4: 7F5E41AF
	v_mul_f32_dpp v240, v252, v160 quad_perm:[0,0,0,0] row_mask:0xf bank_mask:0xf// 0000000242C8: 0BE140FA FF0000FC
	v_mul_f32_dpp v241, v252, v161 quad_perm:[1,1,1,1] row_mask:0xf bank_mask:0xf// 0000000242D0: 0BE342FA FF0055FC
	v_mul_f32_dpp v242, v252, v162 quad_perm:[2,2,2,2] row_mask:0xf bank_mask:0xf// 0000000242D8: 0BE544FA FF00AAFC
	v_mul_f32_dpp v243, v252, v163 quad_perm:[3,3,3,3] row_mask:0xf bank_mask:0xf// 0000000242E0: 0BE746FA FF00FFFC
	v_mul_f32_dpp v244, v253, v164 quad_perm:[0,0,0,0] row_mask:0xf bank_mask:0xf// 0000000242E8: 0BE948FA FF0000FD
	v_mul_f32_dpp v245, v253, v165 quad_perm:[1,1,1,1] row_mask:0xf bank_mask:0xf// 0000000242F0: 0BEB4AFA FF0055FD
	v_mul_f32_dpp v246, v253, v166 quad_perm:[2,2,2,2] row_mask:0xf bank_mask:0xf// 0000000242F8: 0BED4CFA FF00AAFD
	v_mul_f32_dpp v247, v253, v167 quad_perm:[3,3,3,3] row_mask:0xf bank_mask:0xf// 000000024300: 0BEF4EFA FF00FFFD
	v_mul_f32_dpp v248, v254, v168 quad_perm:[0,0,0,0] row_mask:0xf bank_mask:0xf// 000000024308: 0BF150FA FF0000FE
	v_mul_f32_dpp v249, v254, v169 quad_perm:[1,1,1,1] row_mask:0xf bank_mask:0xf// 000000024310: 0BF352FA FF0055FE
	v_mul_f32_dpp v250, v254, v170 quad_perm:[2,2,2,2] row_mask:0xf bank_mask:0xf// 000000024318: 0BF554FA FF00AAFE
	v_mul_f32_dpp v251, v254, v171 quad_perm:[3,3,3,3] row_mask:0xf bank_mask:0xf// 000000024320: 0BF756FA FF00FFFE
	v_mul_f32_dpp v252, v255, v172 quad_perm:[0,0,0,0] row_mask:0xf bank_mask:0xf// 000000024328: 0BF958FA FF0000FF
	v_mul_f32_dpp v253, v255, v173 quad_perm:[1,1,1,1] row_mask:0xf bank_mask:0xf// 000000024330: 0BFB5AFA FF0055FF
	v_mul_f32_dpp v254, v255, v174 quad_perm:[2,2,2,2] row_mask:0xf bank_mask:0xf// 000000024338: 0BFD5CFA FF00AAFF
	v_mul_f32_dpp v255, v255, v175 quad_perm:[3,3,3,3] row_mask:0xf bank_mask:0xf// 000000024340: 0BFF5EFA FF00FFFF
	v_mov_b32_e32 v48, 0x358637bd                              // 000000024348: 7E6002FF 358637BD
	v_max3_f32 v48, |v240|, |v241|, v48                        // 000000024350: D1D30330 04C3E3F0
	v_max3_f32 v48, |v242|, |v243|, v48                        // 000000024358: D1D30330 04C3E7F2
	v_max3_f32 v48, |v244|, |v245|, v48                        // 000000024360: D1D30330 04C3EBF4
	v_max3_f32 v48, |v246|, |v247|, v48                        // 000000024368: D1D30330 04C3EFF6
	v_max3_f32 v48, |v248|, |v249|, v48                        // 000000024370: D1D30330 04C3F3F8
	v_max3_f32 v48, |v250|, |v251|, v48                        // 000000024378: D1D30330 04C3F7FA
	v_max3_f32 v48, |v252|, |v253|, v48                        // 000000024380: D1D30330 04C3FBFC
	v_max3_f32 v48, |v254|, |v255|, v48                        // 000000024388: D1D30330 04C3FFFE
	ds_write_b32 v8, v48 offset:20992                          // 000000024390: D81A5200 00003008
	v_sub_f32_e32 v52, v14, v15                                // 000000024398: 04681F0E
	v_cndmask_b32_e64 v52, v52, 0, s[40:41]                    // 00000002439C: D1000034 00A10134
	v_mov_b32_e32 v14, v15                                     // 0000000243A4: 7E1C030F
	v_mul_f32_e32 v52, s64, v52                                // 0000000243A8: 0A686840
	v_exp_f32_e32 v52, v52                                     // 0000000243AC: 7E684134
	s_waitcnt lgkmcnt(0)                                       // 0000000243B0: BF8CC07F
	s_barrier                                                  // 0000000243B4: BF8A0000
	ds_read_b32 v64, v7 offset:20992                           // 0000000243B8: D86C5200 40000007
	ds_read_b32 v65, v7 offset:21056                           // 0000000243C0: D86C5240 41000007
	ds_read_b32 v66, v7 offset:21120                           // 0000000243C8: D86C5280 42000007
	ds_read_b32 v67, v7 offset:21184                           // 0000000243D0: D86C52C0 43000007
	ds_read_b32 v68, v7 offset:21248                           // 0000000243D8: D86C5300 44000007
	ds_read_b32 v69, v7 offset:21312                           // 0000000243E0: D86C5340 45000007
	ds_read_b32 v70, v7 offset:21376                           // 0000000243E8: D86C5380 46000007
	ds_read_b32 v71, v7 offset:21440                           // 0000000243F0: D86C53C0 47000007
	ds_read_b32 v72, v7 offset:21504                           // 0000000243F8: D86C5400 48000007
	ds_read_b32 v73, v7 offset:21568                           // 000000024400: D86C5440 49000007
	ds_read_b32 v74, v7 offset:21632                           // 000000024408: D86C5480 4A000007
	ds_read_b32 v75, v7 offset:21696                           // 000000024410: D86C54C0 4B000007
	ds_read_b32 v76, v7 offset:21760                           // 000000024418: D86C5500 4C000007
	ds_read_b32 v77, v7 offset:21824                           // 000000024420: D86C5540 4D000007
	ds_read_b32 v78, v7 offset:21888                           // 000000024428: D86C5580 4E000007
	ds_read_b32 v79, v7 offset:21952                           // 000000024430: D86C55C0 4F000007
	v_mul_f32_e32 v41, v52, v41                                // 000000024438: 0A525334
	v_mov_b32_e32 v15, v160                                    // 00000002443C: 7E1E03A0
	v_add_f32_e32 v15, v161, v15                               // 000000024440: 021E1FA1
	v_add_f32_e32 v15, v162, v15                               // 000000024444: 021E1FA2
	v_add_f32_e32 v15, v163, v15                               // 000000024448: 021E1FA3
	v_add_f32_e32 v15, v164, v15                               // 00000002444C: 021E1FA4
	v_add_f32_e32 v15, v165, v15                               // 000000024450: 021E1FA5
	v_add_f32_e32 v15, v166, v15                               // 000000024454: 021E1FA6
	v_add_f32_e32 v15, v167, v15                               // 000000024458: 021E1FA7
	v_add_f32_e32 v15, v168, v15                               // 00000002445C: 021E1FA8
	v_add_f32_e32 v15, v169, v15                               // 000000024460: 021E1FA9
	v_add_f32_e32 v15, v170, v15                               // 000000024464: 021E1FAA
	v_add_f32_e32 v15, v171, v15                               // 000000024468: 021E1FAB
	v_add_f32_e32 v15, v172, v15                               // 00000002446C: 021E1FAC
	v_add_f32_e32 v15, v173, v15                               // 000000024470: 021E1FAD
	v_add_f32_e32 v15, v174, v15                               // 000000024474: 021E1FAE
	v_add_f32_e32 v15, v175, v15                               // 000000024478: 021E1FAF
	v_add_f32_e32 v41, v15, v41                                // 00000002447C: 0252530F
	s_waitcnt lgkmcnt(0)                                       // 000000024480: BF8CC07F
	v_max3_f32 v48, |v64|, |v65|, v48                          // 000000024484: D1D30330 04C28340
	v_max3_f32 v48, |v66|, |v67|, v48                          // 00000002448C: D1D30330 04C28742
	v_max3_f32 v48, |v68|, |v69|, v48                          // 000000024494: D1D30330 04C28B44
	v_max3_f32 v48, |v70|, |v71|, v48                          // 00000002449C: D1D30330 04C28F46
	v_max3_f32 v48, |v72|, |v73|, v48                          // 0000000244A4: D1D30330 04C29348
	v_max3_f32 v48, |v74|, |v75|, v48                          // 0000000244AC: D1D30330 04C2974A
	v_max3_f32 v48, |v76|, |v77|, v48                          // 0000000244B4: D1D30330 04C29B4C
	v_max3_f32 v48, |v78|, |v79|, v48                          // 0000000244BC: D1D30330 04C29F4E
	s_nop 2                                                    // 0000000244C4: BF800002
	v_rcp_f32_e32 v48, v48                                     // 0000000244C8: 7E604530
	s_nop 1                                                    // 0000000244CC: BF800001
	v_mul_f32_e32 v48, 0x43e00000, v48                         // 0000000244D0: 0A6060FF 43E00000
	v_mul_f32_e32 v160, v48, v240                              // 0000000244D8: 0B41E130
	v_mul_f32_e32 v161, v48, v241                              // 0000000244DC: 0B43E330
	v_mul_f32_e32 v162, v48, v242                              // 0000000244E0: 0B45E530
	v_mul_f32_e32 v163, v48, v243                              // 0000000244E4: 0B47E730
	v_mul_f32_e32 v164, v48, v244                              // 0000000244E8: 0B49E930
	v_mul_f32_e32 v165, v48, v245                              // 0000000244EC: 0B4BEB30
	v_mul_f32_e32 v166, v48, v246                              // 0000000244F0: 0B4DED30
	v_mul_f32_e32 v167, v48, v247                              // 0000000244F4: 0B4FEF30
	v_mul_f32_e32 v168, v48, v248                              // 0000000244F8: 0B51F130
	v_mul_f32_e32 v169, v48, v249                              // 0000000244FC: 0B53F330
	v_mul_f32_e32 v170, v48, v250                              // 000000024500: 0B55F530
	v_mul_f32_e32 v171, v48, v251                              // 000000024504: 0B57F730
	v_mul_f32_e32 v172, v48, v252                              // 000000024508: 0B59F930
	v_mul_f32_e32 v173, v48, v253                              // 00000002450C: 0B5BFB30
	v_mul_f32_e32 v174, v48, v254                              // 000000024510: 0B5DFD30
	v_mul_f32_e32 v175, v48, v255                              // 000000024514: 0B5FFF30
	v_cvt_pk_fp8_f32 v160, v160, v161                          // 000000024518: D2A200A0 000343A0
	v_cvt_pk_fp8_f32 v160, v162, v163 op_sel:[0,0,1]           // 000000024520: D2A240A0 000347A2
	v_cvt_pk_fp8_f32 v161, v164, v165                          // 000000024528: D2A200A1 00034BA4
	v_cvt_pk_fp8_f32 v161, v166, v167 op_sel:[0,0,1]           // 000000024530: D2A240A1 00034FA6
	v_cvt_pk_fp8_f32 v162, v168, v169                          // 000000024538: D2A200A2 000353A8
	v_cvt_pk_fp8_f32 v162, v170, v171 op_sel:[0,0,1]           // 000000024540: D2A240A2 000357AA
	v_cvt_pk_fp8_f32 v163, v172, v173                          // 000000024548: D2A200A3 00035BAC
	v_cvt_pk_fp8_f32 v163, v174, v175 op_sel:[0,0,1]           // 000000024550: D2A240A3 00035FAE
	ds_write_b32 v10, v160 offset:37376                        // 000000024558: D81A9200 0000A00A
	ds_write_b32 v10, v161 offset:38400                        // 000000024560: D81A9600 0000A10A
	ds_write_b32 v10, v162 offset:39424                        // 000000024568: D81A9A00 0000A20A
	ds_write_b32 v10, v163 offset:40448                        // 000000024570: D81A9E00 0000A30A
	v_add_f32_e32 v232, v232, v200                             // 000000024578: 03D191E8
	v_add_f32_e32 v233, v233, v201                             // 00000002457C: 03D393E9
	v_add_f32_e32 v234, v234, v202                             // 000000024580: 03D595EA
	v_add_f32_e32 v235, v235, v203                             // 000000024584: 03D797EB
	v_add_f32_e32 v236, v236, v204                             // 000000024588: 03D999EC
	v_add_f32_e32 v237, v237, v205                             // 00000002458C: 03DB9BED
	v_add_f32_e32 v238, v238, v206                             // 000000024590: 03DD9DEE
	v_add_f32_e32 v239, v239, v207                             // 000000024594: 03DF9FEF
	v_rcp_f32_e32 v47, v48                                     // 000000024598: 7E5E4530
	s_waitcnt lgkmcnt(0)                                       // 00000002459C: BF8CC07F
	s_barrier                                                  // 0000000245A0: BF8A0000
	ds_read_b64 v[160:161], v9 offset:37376                    // 0000000245A4: D8EC9200 A0000009
	ds_read_b64 v[162:163], v9 offset:37504                    // 0000000245AC: D8EC9280 A2000009
	ds_read_b64 v[164:165], v9 offset:38400                    // 0000000245B4: D8EC9600 A4000009
	ds_read_b64 v[166:167], v9 offset:38528                    // 0000000245BC: D8EC9680 A6000009
	ds_read_b64 v[168:169], v9 offset:39424                    // 0000000245C4: D8EC9A00 A8000009
	ds_read_b64 v[170:171], v9 offset:39552                    // 0000000245CC: D8EC9A80 AA000009
	ds_read_b64 v[172:173], v9 offset:40448                    // 0000000245D4: D8EC9E00 AC000009
	ds_read_b64 v[174:175], v9 offset:40576                    // 0000000245DC: D8EC9E80 AE000009
	s_waitcnt vmcnt(0)                                         // 0000000245E4: BF8C0F70
	s_barrier                                                  // 0000000245E8: BF8A0000
	v_mfma_f32_16x16x32_fp8_fp8 v[176:179], a[64:65], v[112:113], 0// 0000000245EC: D3F300B0 0A02E140
	v_mfma_f32_16x16x32_fp8_fp8 v[176:179], a[66:67], v[114:115], v[176:179]// 0000000245F4: D3F300B0 0EC2E542
	v_mfma_f32_16x16x32_fp8_fp8 v[176:179], a[68:69], v[116:117], v[176:179]// 0000000245FC: D3F300B0 0EC2E944
	v_mfma_f32_16x16x32_fp8_fp8 v[176:179], a[70:71], v[118:119], v[176:179]// 000000024604: D3F300B0 0EC2ED46
	v_mfma_f32_16x16x32_fp8_fp8 v[176:179], a[72:73], v[120:121], v[176:179]// 00000002460C: D3F300B0 0EC2F148
	v_mfma_f32_16x16x32_fp8_fp8 v[176:179], a[74:75], v[122:123], v[176:179]// 000000024614: D3F300B0 0EC2F54A
	v_mfma_f32_16x16x32_fp8_fp8 v[176:179], a[76:77], v[124:125], v[176:179]// 00000002461C: D3F300B0 0EC2F94C
	v_mfma_f32_16x16x32_fp8_fp8 v[176:179], a[78:79], v[126:127], v[176:179]// 000000024624: D3F300B0 0EC2FD4E
	v_mfma_f32_16x16x32_fp8_fp8 v[180:183], a[80:81], v[112:113], 0// 00000002462C: D3F300B4 0A02E150
	v_mfma_f32_16x16x32_fp8_fp8 v[180:183], a[82:83], v[114:115], v[180:183]// 000000024634: D3F300B4 0ED2E552
	v_mfma_f32_16x16x32_fp8_fp8 v[180:183], a[84:85], v[116:117], v[180:183]// 00000002463C: D3F300B4 0ED2E954
	v_mfma_f32_16x16x32_fp8_fp8 v[180:183], a[86:87], v[118:119], v[180:183]// 000000024644: D3F300B4 0ED2ED56
	v_mfma_f32_16x16x32_fp8_fp8 v[180:183], a[88:89], v[120:121], v[180:183]// 00000002464C: D3F300B4 0ED2F158
	v_mfma_f32_16x16x32_fp8_fp8 v[180:183], a[90:91], v[122:123], v[180:183]// 000000024654: D3F300B4 0ED2F55A
	v_mfma_f32_16x16x32_fp8_fp8 v[180:183], a[92:93], v[124:125], v[180:183]// 00000002465C: D3F300B4 0ED2F95C
	v_mfma_f32_16x16x32_fp8_fp8 v[180:183], a[94:95], v[126:127], v[180:183]// 000000024664: D3F300B4 0ED2FD5E
	v_mfma_f32_16x16x32_fp8_fp8 v[184:187], a[64:65], v[128:129], 0// 00000002466C: D3F300B8 0A030140
	v_mfma_f32_16x16x32_fp8_fp8 v[184:187], a[66:67], v[130:131], v[184:187]// 000000024674: D3F300B8 0EE30542
	v_mfma_f32_16x16x32_fp8_fp8 v[184:187], a[68:69], v[132:133], v[184:187]// 00000002467C: D3F300B8 0EE30944
	v_mfma_f32_16x16x32_fp8_fp8 v[184:187], a[70:71], v[134:135], v[184:187]// 000000024684: D3F300B8 0EE30D46
	v_mfma_f32_16x16x32_fp8_fp8 v[184:187], a[72:73], v[136:137], v[184:187]// 00000002468C: D3F300B8 0EE31148
	v_mfma_f32_16x16x32_fp8_fp8 v[184:187], a[74:75], v[138:139], v[184:187]// 000000024694: D3F300B8 0EE3154A
	v_mfma_f32_16x16x32_fp8_fp8 v[184:187], a[76:77], v[140:141], v[184:187]// 00000002469C: D3F300B8 0EE3194C
	v_mfma_f32_16x16x32_fp8_fp8 v[184:187], a[78:79], v[142:143], v[184:187]// 0000000246A4: D3F300B8 0EE31D4E
	v_mfma_f32_16x16x32_fp8_fp8 v[188:191], a[80:81], v[128:129], 0// 0000000246AC: D3F300BC 0A030150
	v_mfma_f32_16x16x32_fp8_fp8 v[188:191], a[82:83], v[130:131], v[188:191]// 0000000246B4: D3F300BC 0EF30552
	v_mfma_f32_16x16x32_fp8_fp8 v[188:191], a[84:85], v[132:133], v[188:191]// 0000000246BC: D3F300BC 0EF30954
	v_mfma_f32_16x16x32_fp8_fp8 v[188:191], a[86:87], v[134:135], v[188:191]// 0000000246C4: D3F300BC 0EF30D56
	v_mfma_f32_16x16x32_fp8_fp8 v[188:191], a[88:89], v[136:137], v[188:191]// 0000000246CC: D3F300BC 0EF31158
	v_mfma_f32_16x16x32_fp8_fp8 v[188:191], a[90:91], v[138:139], v[188:191]// 0000000246D4: D3F300BC 0EF3155A
	v_mfma_f32_16x16x32_fp8_fp8 v[188:191], a[92:93], v[140:141], v[188:191]// 0000000246DC: D3F300BC 0EF3195C
	v_mfma_f32_16x16x32_fp8_fp8 v[188:191], a[94:95], v[142:143], v[188:191]// 0000000246E4: D3F300BC 0EF31D5E
	v_mfma_f32_16x16x32_fp8_fp8 v[192:195], a[64:65], v[144:145], 0// 0000000246EC: D3F300C0 0A032140
	v_mfma_f32_16x16x32_fp8_fp8 v[192:195], a[66:67], v[146:147], v[192:195]// 0000000246F4: D3F300C0 0F032542
	v_mfma_f32_16x16x32_fp8_fp8 v[192:195], a[68:69], v[148:149], v[192:195]// 0000000246FC: D3F300C0 0F032944
	v_mfma_f32_16x16x32_fp8_fp8 v[192:195], a[70:71], v[150:151], v[192:195]// 000000024704: D3F300C0 0F032D46
	v_mfma_f32_16x16x32_fp8_fp8 v[192:195], a[72:73], v[152:153], v[192:195]// 00000002470C: D3F300C0 0F033148
	v_mfma_f32_16x16x32_fp8_fp8 v[192:195], a[74:75], v[154:155], v[192:195]// 000000024714: D3F300C0 0F03354A
	v_mfma_f32_16x16x32_fp8_fp8 v[192:195], a[76:77], v[156:157], v[192:195]// 00000002471C: D3F300C0 0F03394C
	v_mfma_f32_16x16x32_fp8_fp8 v[192:195], a[78:79], v[158:159], v[192:195]// 000000024724: D3F300C0 0F033D4E
	v_mfma_f32_16x16x32_fp8_fp8 v[196:199], a[80:81], v[144:145], 0// 00000002472C: D3F300C4 0A032150
	v_mfma_f32_16x16x32_fp8_fp8 v[196:199], a[82:83], v[146:147], v[196:199]// 000000024734: D3F300C4 0F132552
	v_mfma_f32_16x16x32_fp8_fp8 v[196:199], a[84:85], v[148:149], v[196:199]// 00000002473C: D3F300C4 0F132954
	v_mfma_f32_16x16x32_fp8_fp8 v[196:199], a[86:87], v[150:151], v[196:199]// 000000024744: D3F300C4 0F132D56
	v_mfma_f32_16x16x32_fp8_fp8 v[196:199], a[88:89], v[152:153], v[196:199]// 00000002474C: D3F300C4 0F133158
	v_mfma_f32_16x16x32_fp8_fp8 v[196:199], a[90:91], v[154:155], v[196:199]// 000000024754: D3F300C4 0F13355A
	v_mfma_f32_16x16x32_fp8_fp8 v[196:199], a[92:93], v[156:157], v[196:199]// 00000002475C: D3F300C4 0F13395C
	v_mfma_f32_16x16x32_fp8_fp8 v[196:199], a[94:95], v[158:159], v[196:199]// 000000024764: D3F300C4 0F133D5E
	v_mfma_f32_16x16x32_fp8_fp8 v[200:203], a[64:65], v[160:161], 0// 00000002476C: D3F300C8 0A034140
	v_mfma_f32_16x16x32_fp8_fp8 v[200:203], a[66:67], v[162:163], v[200:203]// 000000024774: D3F300C8 0F234542
	v_mfma_f32_16x16x32_fp8_fp8 v[200:203], a[68:69], v[164:165], v[200:203]// 00000002477C: D3F300C8 0F234944
	v_mfma_f32_16x16x32_fp8_fp8 v[200:203], a[70:71], v[166:167], v[200:203]// 000000024784: D3F300C8 0F234D46
	v_mfma_f32_16x16x32_fp8_fp8 v[200:203], a[72:73], v[168:169], v[200:203]// 00000002478C: D3F300C8 0F235148
	v_mfma_f32_16x16x32_fp8_fp8 v[200:203], a[74:75], v[170:171], v[200:203]// 000000024794: D3F300C8 0F23554A
	v_mfma_f32_16x16x32_fp8_fp8 v[200:203], a[76:77], v[172:173], v[200:203]// 00000002479C: D3F300C8 0F23594C
	v_mfma_f32_16x16x32_fp8_fp8 v[200:203], a[78:79], v[174:175], v[200:203]// 0000000247A4: D3F300C8 0F235D4E
	v_mfma_f32_16x16x32_fp8_fp8 v[204:207], a[80:81], v[160:161], 0// 0000000247AC: D3F300CC 0A034150
	v_mfma_f32_16x16x32_fp8_fp8 v[204:207], a[82:83], v[162:163], v[204:207]// 0000000247B4: D3F300CC 0F334552
	v_mfma_f32_16x16x32_fp8_fp8 v[204:207], a[84:85], v[164:165], v[204:207]// 0000000247BC: D3F300CC 0F334954
	v_mfma_f32_16x16x32_fp8_fp8 v[204:207], a[86:87], v[166:167], v[204:207]// 0000000247C4: D3F300CC 0F334D56
	v_mfma_f32_16x16x32_fp8_fp8 v[204:207], a[88:89], v[168:169], v[204:207]// 0000000247CC: D3F300CC 0F335158
	v_mfma_f32_16x16x32_fp8_fp8 v[204:207], a[90:91], v[170:171], v[204:207]// 0000000247D4: D3F300CC 0F33555A
	v_mfma_f32_16x16x32_fp8_fp8 v[204:207], a[92:93], v[172:173], v[204:207]// 0000000247DC: D3F300CC 0F33595C
	v_mfma_f32_16x16x32_fp8_fp8 v[204:207], a[94:95], v[174:175], v[204:207]// 0000000247E4: D3F300CC 0F335D5E
	s_nop 4                                                    // 0000000247EC: BF800004
	s_branch label_931F                                        // 0000000247F0: BF8209A2

00000000000247f4 <label_897D>:
	s_waitcnt vmcnt(8) lgkmcnt(0)                              // 0000000247F4: BF8C0078
	s_barrier                                                  // 0000000247F8: BF8A0000
	v_mfma_f32_16x16x32_fp8_fp8 v[112:115], a[32:33], v[80:81], 0// 0000000247FC: D3F30070 0A02A120
	v_mfma_f32_16x16x32_fp8_fp8 v[112:115], a[34:35], v[82:83], v[112:115]// 000000024804: D3F30070 0DC2A522
	v_mfma_f32_16x16x32_fp8_fp8 v[112:115], a[36:37], v[84:85], v[112:115]// 00000002480C: D3F30070 0DC2A924
	v_mfma_f32_16x16x32_fp8_fp8 v[112:115], a[38:39], v[86:87], v[112:115]// 000000024814: D3F30070 0DC2AD26
	v_mfma_f32_16x16x32_fp8_fp8 v[116:119], a[40:41], v[80:81], 0// 00000002481C: D3F30074 0A02A128
	v_mfma_f32_16x16x32_fp8_fp8 v[116:119], a[42:43], v[82:83], v[116:119]// 000000024824: D3F30074 0DD2A52A
	v_mfma_f32_16x16x32_fp8_fp8 v[116:119], a[44:45], v[84:85], v[116:119]// 00000002482C: D3F30074 0DD2A92C
	v_mfma_f32_16x16x32_fp8_fp8 v[116:119], a[46:47], v[86:87], v[116:119]// 000000024834: D3F30074 0DD2AD2E
	v_mfma_f32_16x16x32_fp8_fp8 v[120:123], a[48:49], v[80:81], 0// 00000002483C: D3F30078 0A02A130
	v_mfma_f32_16x16x32_fp8_fp8 v[120:123], a[50:51], v[82:83], v[120:123]// 000000024844: D3F30078 0DE2A532
	v_mfma_f32_16x16x32_fp8_fp8 v[120:123], a[52:53], v[84:85], v[120:123]// 00000002484C: D3F30078 0DE2A934
	v_mfma_f32_16x16x32_fp8_fp8 v[120:123], a[54:55], v[86:87], v[120:123]// 000000024854: D3F30078 0DE2AD36
	v_mfma_f32_16x16x32_fp8_fp8 v[124:127], a[56:57], v[80:81], 0// 00000002485C: D3F3007C 0A02A138
	v_mfma_f32_16x16x32_fp8_fp8 v[124:127], a[58:59], v[82:83], v[124:127]// 000000024864: D3F3007C 0DF2A53A
	v_mfma_f32_16x16x32_fp8_fp8 v[124:127], a[60:61], v[84:85], v[124:127]// 00000002486C: D3F3007C 0DF2A93C
	v_mfma_f32_16x16x32_fp8_fp8 v[124:127], a[62:63], v[86:87], v[124:127]// 000000024874: D3F3007C 0DF2AD3E
	v_mfma_f32_16x16x32_fp8_fp8 v[128:131], a[32:33], v[88:89], 0// 00000002487C: D3F30080 0A02B120
	v_mfma_f32_16x16x32_fp8_fp8 v[128:131], a[34:35], v[90:91], v[128:131]// 000000024884: D3F30080 0E02B522
	v_mfma_f32_16x16x32_fp8_fp8 v[128:131], a[36:37], v[92:93], v[128:131]// 00000002488C: D3F30080 0E02B924
	v_mfma_f32_16x16x32_fp8_fp8 v[128:131], a[38:39], v[94:95], v[128:131]// 000000024894: D3F30080 0E02BD26
	v_mfma_f32_16x16x32_fp8_fp8 v[132:135], a[40:41], v[88:89], 0// 00000002489C: D3F30084 0A02B128
	v_mfma_f32_16x16x32_fp8_fp8 v[132:135], a[42:43], v[90:91], v[132:135]// 0000000248A4: D3F30084 0E12B52A
	v_mfma_f32_16x16x32_fp8_fp8 v[132:135], a[44:45], v[92:93], v[132:135]// 0000000248AC: D3F30084 0E12B92C
	v_mfma_f32_16x16x32_fp8_fp8 v[132:135], a[46:47], v[94:95], v[132:135]// 0000000248B4: D3F30084 0E12BD2E
	v_mfma_f32_16x16x32_fp8_fp8 v[136:139], a[48:49], v[88:89], 0// 0000000248BC: D3F30088 0A02B130
	v_mfma_f32_16x16x32_fp8_fp8 v[136:139], a[50:51], v[90:91], v[136:139]// 0000000248C4: D3F30088 0E22B532
	v_mfma_f32_16x16x32_fp8_fp8 v[136:139], a[52:53], v[92:93], v[136:139]// 0000000248CC: D3F30088 0E22B934
	v_mfma_f32_16x16x32_fp8_fp8 v[136:139], a[54:55], v[94:95], v[136:139]// 0000000248D4: D3F30088 0E22BD36
	v_mfma_f32_16x16x32_fp8_fp8 v[140:143], a[56:57], v[88:89], 0// 0000000248DC: D3F3008C 0A02B138
	v_mfma_f32_16x16x32_fp8_fp8 v[140:143], a[58:59], v[90:91], v[140:143]// 0000000248E4: D3F3008C 0E32B53A
	v_mfma_f32_16x16x32_fp8_fp8 v[140:143], a[60:61], v[92:93], v[140:143]// 0000000248EC: D3F3008C 0E32B93C
	v_mfma_f32_16x16x32_fp8_fp8 v[140:143], a[62:63], v[94:95], v[140:143]// 0000000248F4: D3F3008C 0E32BD3E
	v_mfma_f32_16x16x32_fp8_fp8 v[144:147], a[32:33], v[96:97], 0// 0000000248FC: D3F30090 0A02C120
	v_mfma_f32_16x16x32_fp8_fp8 v[144:147], a[34:35], v[98:99], v[144:147]// 000000024904: D3F30090 0E42C522
	v_mfma_f32_16x16x32_fp8_fp8 v[144:147], a[36:37], v[100:101], v[144:147]// 00000002490C: D3F30090 0E42C924
	v_mfma_f32_16x16x32_fp8_fp8 v[144:147], a[38:39], v[102:103], v[144:147]// 000000024914: D3F30090 0E42CD26
	v_mfma_f32_16x16x32_fp8_fp8 v[148:151], a[40:41], v[96:97], 0// 00000002491C: D3F30094 0A02C128
	v_mfma_f32_16x16x32_fp8_fp8 v[148:151], a[42:43], v[98:99], v[148:151]// 000000024924: D3F30094 0E52C52A
	v_mfma_f32_16x16x32_fp8_fp8 v[148:151], a[44:45], v[100:101], v[148:151]// 00000002492C: D3F30094 0E52C92C
	v_mfma_f32_16x16x32_fp8_fp8 v[148:151], a[46:47], v[102:103], v[148:151]// 000000024934: D3F30094 0E52CD2E
	v_mfma_f32_16x16x32_fp8_fp8 v[152:155], a[48:49], v[96:97], 0// 00000002493C: D3F30098 0A02C130
	v_mfma_f32_16x16x32_fp8_fp8 v[152:155], a[50:51], v[98:99], v[152:155]// 000000024944: D3F30098 0E62C532
	v_mfma_f32_16x16x32_fp8_fp8 v[152:155], a[52:53], v[100:101], v[152:155]// 00000002494C: D3F30098 0E62C934
	v_mfma_f32_16x16x32_fp8_fp8 v[152:155], a[54:55], v[102:103], v[152:155]// 000000024954: D3F30098 0E62CD36
	v_mfma_f32_16x16x32_fp8_fp8 v[156:159], a[56:57], v[96:97], 0// 00000002495C: D3F3009C 0A02C138
	v_mfma_f32_16x16x32_fp8_fp8 v[156:159], a[58:59], v[98:99], v[156:159]// 000000024964: D3F3009C 0E72C53A
	v_mfma_f32_16x16x32_fp8_fp8 v[156:159], a[60:61], v[100:101], v[156:159]// 00000002496C: D3F3009C 0E72C93C
	v_mfma_f32_16x16x32_fp8_fp8 v[156:159], a[62:63], v[102:103], v[156:159]// 000000024974: D3F3009C 0E72CD3E
	v_mfma_f32_16x16x32_fp8_fp8 v[160:163], a[32:33], v[104:105], 0// 00000002497C: D3F300A0 0A02D120
	v_mfma_f32_16x16x32_fp8_fp8 v[160:163], a[34:35], v[106:107], v[160:163]// 000000024984: D3F300A0 0E82D522
	v_mfma_f32_16x16x32_fp8_fp8 v[160:163], a[36:37], v[108:109], v[160:163]// 00000002498C: D3F300A0 0E82D924
	v_mfma_f32_16x16x32_fp8_fp8 v[160:163], a[38:39], v[110:111], v[160:163]// 000000024994: D3F300A0 0E82DD26
	v_mfma_f32_16x16x32_fp8_fp8 v[164:167], a[40:41], v[104:105], 0// 00000002499C: D3F300A4 0A02D128
	v_mfma_f32_16x16x32_fp8_fp8 v[164:167], a[42:43], v[106:107], v[164:167]// 0000000249A4: D3F300A4 0E92D52A
	v_mfma_f32_16x16x32_fp8_fp8 v[164:167], a[44:45], v[108:109], v[164:167]// 0000000249AC: D3F300A4 0E92D92C
	v_mfma_f32_16x16x32_fp8_fp8 v[164:167], a[46:47], v[110:111], v[164:167]// 0000000249B4: D3F300A4 0E92DD2E
	v_mfma_f32_16x16x32_fp8_fp8 v[168:171], a[48:49], v[104:105], 0// 0000000249BC: D3F300A8 0A02D130
	v_mfma_f32_16x16x32_fp8_fp8 v[168:171], a[50:51], v[106:107], v[168:171]// 0000000249C4: D3F300A8 0EA2D532
	v_mfma_f32_16x16x32_fp8_fp8 v[168:171], a[52:53], v[108:109], v[168:171]// 0000000249CC: D3F300A8 0EA2D934
	v_mfma_f32_16x16x32_fp8_fp8 v[168:171], a[54:55], v[110:111], v[168:171]// 0000000249D4: D3F300A8 0EA2DD36
	v_mfma_f32_16x16x32_fp8_fp8 v[172:175], a[56:57], v[104:105], 0// 0000000249DC: D3F300AC 0A02D138
	v_mfma_f32_16x16x32_fp8_fp8 v[172:175], a[58:59], v[106:107], v[172:175]// 0000000249E4: D3F300AC 0EB2D53A
	v_mfma_f32_16x16x32_fp8_fp8 v[172:175], a[60:61], v[108:109], v[172:175]// 0000000249EC: D3F300AC 0EB2D93C
	v_mfma_f32_16x16x32_fp8_fp8 v[172:175], a[62:63], v[110:111], v[172:175]// 0000000249F4: D3F300AC 0EB2DD3E
	v_mov_b32_dpp v64, v43 row_shr:4 row_mask:0xf bank_mask:0xf// 0000000249FC: 7E8002FA FF01142B
	v_mov_b32_dpp v65, v43 row_shl:4 row_mask:0xf bank_mask:0xf// 000000024A04: 7E8202FA FF01042B
	v_cndmask_b32_e64 v248, v43, v64, s[44:45]                 // 000000024A0C: D10000F8 00B2812B
	v_cndmask_b32_e64 v249, v65, v43, s[44:45]                 // 000000024A14: D10000F9 00B25741
	v_mov_b32_dpp v64, v248 row_shr:8 row_mask:0xf bank_mask:0xf// 000000024A1C: 7E8002FA FF0118F8
	v_mov_b32_dpp v65, v248 row_shl:8 row_mask:0xf bank_mask:0xf// 000000024A24: 7E8202FA FF0108F8
	v_mov_b32_dpp v66, v249 row_shr:8 row_mask:0xf bank_mask:0xf// 000000024A2C: 7E8402FA FF0118F9
	v_mov_b32_dpp v67, v249 row_shl:8 row_mask:0xf bank_mask:0xf// 000000024A34: 7E8602FA FF0108F9
	v_mov_b32_e32 v68, v248                                    // 000000024A3C: 7E8803F8
	v_mov_b32_e32 v69, v249                                    // 000000024A40: 7E8A03F9
	v_cndmask_b32_e64 v248, v68, v64, s[42:43]                 // 000000024A44: D10000F8 00AA8144
	v_cndmask_b32_e64 v250, v68, v65, s[78:79]                 // 000000024A4C: D10000FA 013A8344
	v_cndmask_b32_e64 v249, v69, v66, s[42:43]                 // 000000024A54: D10000F9 00AA8545
	v_cndmask_b32_e64 v251, v69, v67, s[78:79]                 // 000000024A5C: D10000FB 013A8745
	v_mov_b32_dpp v64, v58 row_shr:4 row_mask:0xf bank_mask:0xf// 000000024A64: 7E8002FA FF01143A
	v_mov_b32_dpp v65, v58 row_shl:4 row_mask:0xf bank_mask:0xf// 000000024A6C: 7E8202FA FF01043A
	v_cndmask_b32_e64 v252, v58, v64, s[44:45]                 // 000000024A74: D10000FC 00B2813A
	v_cndmask_b32_e64 v253, v65, v58, s[44:45]                 // 000000024A7C: D10000FD 00B27541
	v_mov_b32_dpp v64, v252 row_shr:8 row_mask:0xf bank_mask:0xf// 000000024A84: 7E8002FA FF0118FC
	v_mov_b32_dpp v65, v252 row_shl:8 row_mask:0xf bank_mask:0xf// 000000024A8C: 7E8202FA FF0108FC
	v_mov_b32_dpp v66, v253 row_shr:8 row_mask:0xf bank_mask:0xf// 000000024A94: 7E8402FA FF0118FD
	v_mov_b32_dpp v67, v253 row_shl:8 row_mask:0xf bank_mask:0xf// 000000024A9C: 7E8602FA FF0108FD
	v_mov_b32_e32 v68, v252                                    // 000000024AA4: 7E8803FC
	v_mov_b32_e32 v69, v253                                    // 000000024AA8: 7E8A03FD
	v_cndmask_b32_e64 v252, v68, v64, s[42:43]                 // 000000024AAC: D10000FC 00AA8144
	v_cndmask_b32_e64 v254, v68, v65, s[78:79]                 // 000000024AB4: D10000FE 013A8344
	v_cndmask_b32_e64 v253, v69, v66, s[42:43]                 // 000000024ABC: D10000FD 00AA8545
	v_cndmask_b32_e64 v255, v69, v67, s[78:79]                 // 000000024AC4: D10000FF 013A8745
	v_mul_f32_e32 v112, v18, v112                              // 000000024ACC: 0AE0E112
	v_mul_f32_e32 v113, v18, v113                              // 000000024AD0: 0AE2E312
	v_mul_f32_e32 v114, v18, v114                              // 000000024AD4: 0AE4E512
	v_mul_f32_e32 v115, v18, v115                              // 000000024AD8: 0AE6E712
	v_mul_f32_e32 v116, v18, v116                              // 000000024ADC: 0AE8E912
	v_mul_f32_e32 v117, v18, v117                              // 000000024AE0: 0AEAEB12
	v_mul_f32_e32 v118, v18, v118                              // 000000024AE4: 0AECED12
	v_mul_f32_e32 v119, v18, v119                              // 000000024AE8: 0AEEEF12
	v_mul_f32_e32 v120, v18, v120                              // 000000024AEC: 0AF0F112
	v_mul_f32_e32 v121, v18, v121                              // 000000024AF0: 0AF2F312
	v_mul_f32_e32 v122, v18, v122                              // 000000024AF4: 0AF4F512
	v_mul_f32_e32 v123, v18, v123                              // 000000024AF8: 0AF6F712
	v_mul_f32_e32 v124, v18, v124                              // 000000024AFC: 0AF8F912
	v_mul_f32_e32 v125, v18, v125                              // 000000024B00: 0AFAFB12
	v_mul_f32_e32 v126, v18, v126                              // 000000024B04: 0AFCFD12
	v_mul_f32_e32 v127, v18, v127                              // 000000024B08: 0AFEFF12
	v_mul_f32_dpp v112, v248, v112 quad_perm:[0,0,0,0] row_mask:0xf bank_mask:0xf// 000000024B0C: 0AE0E0FA FF0000F8
	v_mul_f32_dpp v113, v248, v113 quad_perm:[1,1,1,1] row_mask:0xf bank_mask:0xf// 000000024B14: 0AE2E2FA FF0055F8
	v_mul_f32_dpp v114, v248, v114 quad_perm:[2,2,2,2] row_mask:0xf bank_mask:0xf// 000000024B1C: 0AE4E4FA FF00AAF8
	v_mul_f32_dpp v115, v248, v115 quad_perm:[3,3,3,3] row_mask:0xf bank_mask:0xf// 000000024B24: 0AE6E6FA FF00FFF8
	v_mul_f32_dpp v116, v249, v116 quad_perm:[0,0,0,0] row_mask:0xf bank_mask:0xf// 000000024B2C: 0AE8E8FA FF0000F9
	v_mul_f32_dpp v117, v249, v117 quad_perm:[1,1,1,1] row_mask:0xf bank_mask:0xf// 000000024B34: 0AEAEAFA FF0055F9
	v_mul_f32_dpp v118, v249, v118 quad_perm:[2,2,2,2] row_mask:0xf bank_mask:0xf// 000000024B3C: 0AECECFA FF00AAF9
	v_mul_f32_dpp v119, v249, v119 quad_perm:[3,3,3,3] row_mask:0xf bank_mask:0xf// 000000024B44: 0AEEEEFA FF00FFF9
	v_mul_f32_dpp v120, v250, v120 quad_perm:[0,0,0,0] row_mask:0xf bank_mask:0xf// 000000024B4C: 0AF0F0FA FF0000FA
	v_mul_f32_dpp v121, v250, v121 quad_perm:[1,1,1,1] row_mask:0xf bank_mask:0xf// 000000024B54: 0AF2F2FA FF0055FA
	v_mul_f32_dpp v122, v250, v122 quad_perm:[2,2,2,2] row_mask:0xf bank_mask:0xf// 000000024B5C: 0AF4F4FA FF00AAFA
	v_mul_f32_dpp v123, v250, v123 quad_perm:[3,3,3,3] row_mask:0xf bank_mask:0xf// 000000024B64: 0AF6F6FA FF00FFFA
	v_mul_f32_dpp v124, v251, v124 quad_perm:[0,0,0,0] row_mask:0xf bank_mask:0xf// 000000024B6C: 0AF8F8FA FF0000FB
	v_mul_f32_dpp v125, v251, v125 quad_perm:[1,1,1,1] row_mask:0xf bank_mask:0xf// 000000024B74: 0AFAFAFA FF0055FB
	v_mul_f32_dpp v126, v251, v126 quad_perm:[2,2,2,2] row_mask:0xf bank_mask:0xf// 000000024B7C: 0AFCFCFA FF00AAFB
	v_mul_f32_dpp v127, v251, v127 quad_perm:[3,3,3,3] row_mask:0xf bank_mask:0xf// 000000024B84: 0AFEFEFA FF00FFFB
	s_and_b32 s60, s72, 0xff                                   // 000000024B8C: 863CFF48 000000FF
	v_mov_b32_e32 v65, s60                                     // 000000024B94: 7E82023C
	v_lshrrev_b32_e32 v240, 4, v0                              // 000000024B98: 21E00084
	v_mul_i32_i24_e32 v240, 4, v240                            // 000000024B9C: 0DE1E084
	s_mul_i32 s60, s7, 16                                      // 000000024BA0: 923C9007
	v_add_u32_e32 v240, s60, v240                              // 000000024BA4: 69E1E03C
	v_add_u32_e32 v241, 1, v240                                // 000000024BA8: 69E3E081
	v_add_u32_e32 v242, 2, v240                                // 000000024BAC: 69E5E082
	v_add_u32_e32 v243, 3, v240                                // 000000024BB0: 69E7E083
	v_mov_b32_e32 v64, 0xff800000                              // 000000024BB4: 7E8002FF FF800000
	v_cmp_lt_u32_e64 s[40:41], v240, v65                       // 000000024BBC: D0C90028 000283F0
	v_add_u32_e32 v240, 64, v240                               // 000000024BC4: 69E1E0C0
	s_nop 0                                                    // 000000024BC8: BF800000
	v_cndmask_b32_e64 v112, v64, v112, s[40:41]                // 000000024BCC: D1000070 00A2E140
	v_cmp_lt_u32_e64 s[40:41], v241, v65                       // 000000024BD4: D0C90028 000283F1
	v_add_u32_e32 v241, 64, v241                               // 000000024BDC: 69E3E2C0
	s_nop 0                                                    // 000000024BE0: BF800000
	v_cndmask_b32_e64 v113, v64, v113, s[40:41]                // 000000024BE4: D1000071 00A2E340
	v_cmp_lt_u32_e64 s[40:41], v242, v65                       // 000000024BEC: D0C90028 000283F2
	v_add_u32_e32 v242, 64, v242                               // 000000024BF4: 69E5E4C0
	s_nop 0                                                    // 000000024BF8: BF800000
	v_cndmask_b32_e64 v114, v64, v114, s[40:41]                // 000000024BFC: D1000072 00A2E540
	v_cmp_lt_u32_e64 s[40:41], v243, v65                       // 000000024C04: D0C90028 000283F3
	v_add_u32_e32 v243, 64, v243                               // 000000024C0C: 69E7E6C0
	s_nop 0                                                    // 000000024C10: BF800000
	v_cndmask_b32_e64 v115, v64, v115, s[40:41]                // 000000024C14: D1000073 00A2E740
	v_cmp_lt_u32_e64 s[40:41], v240, v65                       // 000000024C1C: D0C90028 000283F0
	v_add_u32_e32 v240, 64, v240                               // 000000024C24: 69E1E0C0
	s_nop 0                                                    // 000000024C28: BF800000
	v_cndmask_b32_e64 v116, v64, v116, s[40:41]                // 000000024C2C: D1000074 00A2E940
	v_cmp_lt_u32_e64 s[40:41], v241, v65                       // 000000024C34: D0C90028 000283F1
	v_add_u32_e32 v241, 64, v241                               // 000000024C3C: 69E3E2C0
	s_nop 0                                                    // 000000024C40: BF800000
	v_cndmask_b32_e64 v117, v64, v117, s[40:41]                // 000000024C44: D1000075 00A2EB40
	v_cmp_lt_u32_e64 s[40:41], v242, v65                       // 000000024C4C: D0C90028 000283F2
	v_add_u32_e32 v242, 64, v242                               // 000000024C54: 69E5E4C0
	s_nop 0                                                    // 000000024C58: BF800000
	v_cndmask_b32_e64 v118, v64, v118, s[40:41]                // 000000024C5C: D1000076 00A2ED40
	v_cmp_lt_u32_e64 s[40:41], v243, v65                       // 000000024C64: D0C90028 000283F3
	v_add_u32_e32 v243, 64, v243                               // 000000024C6C: 69E7E6C0
	s_nop 0                                                    // 000000024C70: BF800000
	v_cndmask_b32_e64 v119, v64, v119, s[40:41]                // 000000024C74: D1000077 00A2EF40
	v_cmp_lt_u32_e64 s[40:41], v240, v65                       // 000000024C7C: D0C90028 000283F0
	v_add_u32_e32 v240, 64, v240                               // 000000024C84: 69E1E0C0
	s_nop 0                                                    // 000000024C88: BF800000
	v_cndmask_b32_e64 v120, v64, v120, s[40:41]                // 000000024C8C: D1000078 00A2F140
	v_cmp_lt_u32_e64 s[40:41], v241, v65                       // 000000024C94: D0C90028 000283F1
	v_add_u32_e32 v241, 64, v241                               // 000000024C9C: 69E3E2C0
	s_nop 0                                                    // 000000024CA0: BF800000
	v_cndmask_b32_e64 v121, v64, v121, s[40:41]                // 000000024CA4: D1000079 00A2F340
	v_cmp_lt_u32_e64 s[40:41], v242, v65                       // 000000024CAC: D0C90028 000283F2
	v_add_u32_e32 v242, 64, v242                               // 000000024CB4: 69E5E4C0
	s_nop 0                                                    // 000000024CB8: BF800000
	v_cndmask_b32_e64 v122, v64, v122, s[40:41]                // 000000024CBC: D100007A 00A2F540
	v_cmp_lt_u32_e64 s[40:41], v243, v65                       // 000000024CC4: D0C90028 000283F3
	v_add_u32_e32 v243, 64, v243                               // 000000024CCC: 69E7E6C0
	s_nop 0                                                    // 000000024CD0: BF800000
	v_cndmask_b32_e64 v123, v64, v123, s[40:41]                // 000000024CD4: D100007B 00A2F740
	v_cmp_lt_u32_e64 s[40:41], v240, v65                       // 000000024CDC: D0C90028 000283F0
	v_add_u32_e32 v240, 64, v240                               // 000000024CE4: 69E1E0C0
	s_nop 0                                                    // 000000024CE8: BF800000
	v_cndmask_b32_e64 v124, v64, v124, s[40:41]                // 000000024CEC: D100007C 00A2F940
	v_cmp_lt_u32_e64 s[40:41], v241, v65                       // 000000024CF4: D0C90028 000283F1
	v_add_u32_e32 v241, 64, v241                               // 000000024CFC: 69E3E2C0
	s_nop 0                                                    // 000000024D00: BF800000
	v_cndmask_b32_e64 v125, v64, v125, s[40:41]                // 000000024D04: D100007D 00A2FB40
	v_cmp_lt_u32_e64 s[40:41], v242, v65                       // 000000024D0C: D0C90028 000283F2
	v_add_u32_e32 v242, 64, v242                               // 000000024D14: 69E5E4C0
	s_nop 0                                                    // 000000024D18: BF800000
	v_cndmask_b32_e64 v126, v64, v126, s[40:41]                // 000000024D1C: D100007E 00A2FD40
	v_cmp_lt_u32_e64 s[40:41], v243, v65                       // 000000024D24: D0C90028 000283F3
	v_add_u32_e32 v243, 64, v243                               // 000000024D2C: 69E7E6C0
	s_nop 0                                                    // 000000024D30: BF800000
	v_cndmask_b32_e64 v127, v64, v127, s[40:41]                // 000000024D34: D100007F 00A2FF40
	v_mov_b32_e32 v48, v112                                    // 000000024D3C: 7E600370
	v_max3_f32 v48, v112, v113, v48                            // 000000024D40: D1D30030 04C2E370
	v_max3_f32 v48, v114, v115, v48                            // 000000024D48: D1D30030 04C2E772
	v_max3_f32 v48, v116, v117, v48                            // 000000024D50: D1D30030 04C2EB74
	v_max3_f32 v48, v118, v119, v48                            // 000000024D58: D1D30030 04C2EF76
	v_max3_f32 v48, v120, v121, v48                            // 000000024D60: D1D30030 04C2F378
	v_max3_f32 v48, v122, v123, v48                            // 000000024D68: D1D30030 04C2F77A
	v_max3_f32 v48, v124, v125, v48                            // 000000024D70: D1D30030 04C2FB7C
	v_max3_f32 v48, v126, v127, v48                            // 000000024D78: D1D30030 04C2FF7E
	ds_write_b32 v8, v48 offset:16896                          // 000000024D80: D81A4200 00003008
	v_mul_u32_u24_dpp v64, v16, v54 row_newbcast:1 row_mask:0xf bank_mask:0xf// 000000024D88: 10806CFA FF015110
	v_mul_u32_u24_dpp v65, v16, v54 row_newbcast:5 row_mask:0xf bank_mask:0xf// 000000024D90: 10826CFA FF015510
	v_mul_u32_u24_dpp v66, v16, v54 row_newbcast:9 row_mask:0xf bank_mask:0xf// 000000024D98: 10846CFA FF015910
	v_mul_u32_u24_dpp v67, v16, v54 row_newbcast:13 row_mask:0xf bank_mask:0xf// 000000024DA0: 10866CFA FF015D10
	v_add_u32_e32 v30, v64, v6                                 // 000000024DA8: 683C0D40
	v_add_u32_e32 v31, v65, v6                                 // 000000024DAC: 683E0D41
	v_add_u32_e32 v32, v66, v6                                 // 000000024DB0: 68400D42
	v_add_u32_e32 v33, v67, v6                                 // 000000024DB4: 68420D43
	v_mul_f32_e32 v208, v49, v208                              // 000000024DB8: 0BA1A131
	v_mul_f32_e32 v209, v49, v209                              // 000000024DBC: 0BA3A331
	v_mul_f32_e32 v210, v49, v210                              // 000000024DC0: 0BA5A531
	v_mul_f32_e32 v211, v49, v211                              // 000000024DC4: 0BA7A731
	v_mul_f32_e32 v212, v49, v212                              // 000000024DC8: 0BA9A931
	v_mul_f32_e32 v213, v49, v213                              // 000000024DCC: 0BABAB31
	v_mul_f32_e32 v214, v49, v214                              // 000000024DD0: 0BADAD31
	v_mul_f32_e32 v215, v49, v215                              // 000000024DD4: 0BAFAF31
	s_waitcnt lgkmcnt(0)                                       // 000000024DD8: BF8CC07F
	s_barrier                                                  // 000000024DDC: BF8A0000
	ds_read_b32 v64, v7 offset:16896                           // 000000024DE0: D86C4200 40000007
	ds_read_b32 v65, v7 offset:16960                           // 000000024DE8: D86C4240 41000007
	ds_read_b32 v66, v7 offset:17024                           // 000000024DF0: D86C4280 42000007
	ds_read_b32 v67, v7 offset:17088                           // 000000024DF8: D86C42C0 43000007
	ds_read_b32 v68, v7 offset:17152                           // 000000024E00: D86C4300 44000007
	ds_read_b32 v69, v7 offset:17216                           // 000000024E08: D86C4340 45000007
	ds_read_b32 v70, v7 offset:17280                           // 000000024E10: D86C4380 46000007
	ds_read_b32 v71, v7 offset:17344                           // 000000024E18: D86C43C0 47000007
	ds_read_b32 v72, v7 offset:17408                           // 000000024E20: D86C4400 48000007
	ds_read_b32 v73, v7 offset:17472                           // 000000024E28: D86C4440 49000007
	ds_read_b32 v74, v7 offset:17536                           // 000000024E30: D86C4480 4A000007
	ds_read_b32 v75, v7 offset:17600                           // 000000024E38: D86C44C0 4B000007
	ds_read_b32 v76, v7 offset:17664                           // 000000024E40: D86C4500 4C000007
	ds_read_b32 v77, v7 offset:17728                           // 000000024E48: D86C4540 4D000007
	ds_read_b32 v78, v7 offset:17792                           // 000000024E50: D86C4580 4E000007
	ds_read_b32 v79, v7 offset:17856                           // 000000024E58: D86C45C0 4F000007
	v_mul_f32_e32 v176, v44, v176                              // 000000024E60: 0B61612C
	v_mul_f32_e32 v177, v44, v177                              // 000000024E64: 0B63632C
	v_mul_f32_e32 v178, v44, v178                              // 000000024E68: 0B65652C
	v_mul_f32_e32 v179, v44, v179                              // 000000024E6C: 0B67672C
	v_mul_f32_e32 v180, v44, v180                              // 000000024E70: 0B69692C
	v_mul_f32_e32 v181, v44, v181                              // 000000024E74: 0B6B6B2C
	v_mul_f32_e32 v182, v44, v182                              // 000000024E78: 0B6D6D2C
	v_mul_f32_e32 v183, v44, v183                              // 000000024E7C: 0B6F6F2C
	s_waitcnt lgkmcnt(0)                                       // 000000024E80: BF8CC07F
	v_max3_f32 v48, v64, v65, v48                              // 000000024E84: D1D30030 04C28340
	v_max3_f32 v48, v66, v67, v48                              // 000000024E8C: D1D30030 04C28742
	v_max3_f32 v48, v68, v69, v48                              // 000000024E94: D1D30030 04C28B44
	v_max3_f32 v48, v70, v71, v48                              // 000000024E9C: D1D30030 04C28F46
	v_max3_f32 v48, v72, v73, v48                              // 000000024EA4: D1D30030 04C29348
	v_max3_f32 v48, v74, v75, v48                              // 000000024EAC: D1D30030 04C2974A
	v_max3_f32 v48, v76, v77, v48                              // 000000024EB4: D1D30030 04C29B4C
	v_max3_f32 v48, v78, v79, v48                              // 000000024EBC: D1D30030 04C29F4E
	v_mov_b32_e32 v64, 0xff800000                              // 000000024EC4: 7E8002FF FF800000
	v_cmp_eq_u32_e64 s[40:41], v64, v11                        // 000000024ECC: D0CA0028 00021740
	s_nop 1                                                    // 000000024ED4: BF800001
	v_max_f32_e32 v15, v48, v11                                // 000000024ED8: 161E1730
	v_mul_f32_e32 v53, s64, v15                                // 000000024EDC: 0A6A1E40
	v_fma_f32 v112, v112, s64, -v53                            // 000000024EE0: D1CB0070 84D48170
	v_fma_f32 v113, v113, s64, -v53                            // 000000024EE8: D1CB0071 84D48171
	v_fma_f32 v114, v114, s64, -v53                            // 000000024EF0: D1CB0072 84D48172
	v_fma_f32 v115, v115, s64, -v53                            // 000000024EF8: D1CB0073 84D48173
	v_fma_f32 v116, v116, s64, -v53                            // 000000024F00: D1CB0074 84D48174
	v_fma_f32 v117, v117, s64, -v53                            // 000000024F08: D1CB0075 84D48175
	v_fma_f32 v118, v118, s64, -v53                            // 000000024F10: D1CB0076 84D48176
	v_fma_f32 v119, v119, s64, -v53                            // 000000024F18: D1CB0077 84D48177
	v_fma_f32 v120, v120, s64, -v53                            // 000000024F20: D1CB0078 84D48178
	v_fma_f32 v121, v121, s64, -v53                            // 000000024F28: D1CB0079 84D48179
	v_fma_f32 v122, v122, s64, -v53                            // 000000024F30: D1CB007A 84D4817A
	v_fma_f32 v123, v123, s64, -v53                            // 000000024F38: D1CB007B 84D4817B
	v_fma_f32 v124, v124, s64, -v53                            // 000000024F40: D1CB007C 84D4817C
	v_fma_f32 v125, v125, s64, -v53                            // 000000024F48: D1CB007D 84D4817D
	v_fma_f32 v126, v126, s64, -v53                            // 000000024F50: D1CB007E 84D4817E
	v_fma_f32 v127, v127, s64, -v53                            // 000000024F58: D1CB007F 84D4817F
	v_exp_f32_e32 v112, v112                                   // 000000024F60: 7EE04170
	v_exp_f32_e32 v113, v113                                   // 000000024F64: 7EE24171
	v_exp_f32_e32 v114, v114                                   // 000000024F68: 7EE44172
	v_exp_f32_e32 v115, v115                                   // 000000024F6C: 7EE64173
	v_exp_f32_e32 v116, v116                                   // 000000024F70: 7EE84174
	v_exp_f32_e32 v117, v117                                   // 000000024F74: 7EEA4175
	v_exp_f32_e32 v118, v118                                   // 000000024F78: 7EEC4176
	v_exp_f32_e32 v119, v119                                   // 000000024F7C: 7EEE4177
	v_exp_f32_e32 v120, v120                                   // 000000024F80: 7EF04178
	v_exp_f32_e32 v121, v121                                   // 000000024F84: 7EF24179
	v_exp_f32_e32 v122, v122                                   // 000000024F88: 7EF4417A
	v_exp_f32_e32 v123, v123                                   // 000000024F8C: 7EF6417B
	v_exp_f32_e32 v124, v124                                   // 000000024F90: 7EF8417C
	v_exp_f32_e32 v125, v125                                   // 000000024F94: 7EFA417D
	v_exp_f32_e32 v126, v126                                   // 000000024F98: 7EFC417E
	v_exp_f32_e32 v127, v127                                   // 000000024F9C: 7EFE417F
	v_mul_f32_dpp v240, v252, v112 quad_perm:[0,0,0,0] row_mask:0xf bank_mask:0xf// 000000024FA0: 0BE0E0FA FF0000FC
	v_mul_f32_dpp v241, v252, v113 quad_perm:[1,1,1,1] row_mask:0xf bank_mask:0xf// 000000024FA8: 0BE2E2FA FF0055FC
	v_mul_f32_dpp v242, v252, v114 quad_perm:[2,2,2,2] row_mask:0xf bank_mask:0xf// 000000024FB0: 0BE4E4FA FF00AAFC
	v_mul_f32_dpp v243, v252, v115 quad_perm:[3,3,3,3] row_mask:0xf bank_mask:0xf// 000000024FB8: 0BE6E6FA FF00FFFC
	v_mul_f32_dpp v244, v253, v116 quad_perm:[0,0,0,0] row_mask:0xf bank_mask:0xf// 000000024FC0: 0BE8E8FA FF0000FD
	v_mul_f32_dpp v245, v253, v117 quad_perm:[1,1,1,1] row_mask:0xf bank_mask:0xf// 000000024FC8: 0BEAEAFA FF0055FD
	v_mul_f32_dpp v246, v253, v118 quad_perm:[2,2,2,2] row_mask:0xf bank_mask:0xf// 000000024FD0: 0BECECFA FF00AAFD
	v_mul_f32_dpp v247, v253, v119 quad_perm:[3,3,3,3] row_mask:0xf bank_mask:0xf// 000000024FD8: 0BEEEEFA FF00FFFD
	v_mul_f32_dpp v248, v254, v120 quad_perm:[0,0,0,0] row_mask:0xf bank_mask:0xf// 000000024FE0: 0BF0F0FA FF0000FE
	v_mul_f32_dpp v249, v254, v121 quad_perm:[1,1,1,1] row_mask:0xf bank_mask:0xf// 000000024FE8: 0BF2F2FA FF0055FE
	v_mul_f32_dpp v250, v254, v122 quad_perm:[2,2,2,2] row_mask:0xf bank_mask:0xf// 000000024FF0: 0BF4F4FA FF00AAFE
	v_mul_f32_dpp v251, v254, v123 quad_perm:[3,3,3,3] row_mask:0xf bank_mask:0xf// 000000024FF8: 0BF6F6FA FF00FFFE
	v_mul_f32_dpp v252, v255, v124 quad_perm:[0,0,0,0] row_mask:0xf bank_mask:0xf// 000000025000: 0BF8F8FA FF0000FF
	v_mul_f32_dpp v253, v255, v125 quad_perm:[1,1,1,1] row_mask:0xf bank_mask:0xf// 000000025008: 0BFAFAFA FF0055FF
	v_mul_f32_dpp v254, v255, v126 quad_perm:[2,2,2,2] row_mask:0xf bank_mask:0xf// 000000025010: 0BFCFCFA FF00AAFF
	v_mul_f32_dpp v255, v255, v127 quad_perm:[3,3,3,3] row_mask:0xf bank_mask:0xf// 000000025018: 0BFEFEFA FF00FFFF
	v_mov_b32_e32 v48, 0x358637bd                              // 000000025020: 7E6002FF 358637BD
	v_max3_f32 v48, |v240|, |v241|, v48                        // 000000025028: D1D30330 04C3E3F0
	v_max3_f32 v48, |v242|, |v243|, v48                        // 000000025030: D1D30330 04C3E7F2
	v_max3_f32 v48, |v244|, |v245|, v48                        // 000000025038: D1D30330 04C3EBF4
	v_max3_f32 v48, |v246|, |v247|, v48                        // 000000025040: D1D30330 04C3EFF6
	v_max3_f32 v48, |v248|, |v249|, v48                        // 000000025048: D1D30330 04C3F3F8
	v_max3_f32 v48, |v250|, |v251|, v48                        // 000000025050: D1D30330 04C3F7FA
	v_max3_f32 v48, |v252|, |v253|, v48                        // 000000025058: D1D30330 04C3FBFC
	v_max3_f32 v48, |v254|, |v255|, v48                        // 000000025060: D1D30330 04C3FFFE
	ds_write_b32 v8, v48 offset:20992                          // 000000025068: D81A5200 00003008
	v_sub_f32_e32 v49, v11, v15                                // 000000025070: 04621F0B
	v_cndmask_b32_e64 v49, v49, 0, s[40:41]                    // 000000025074: D1000031 00A10131
	v_mov_b32_e32 v11, v15                                     // 00000002507C: 7E16030F
	v_mul_f32_e32 v49, s64, v49                                // 000000025080: 0A626240
	v_exp_f32_e32 v49, v49                                     // 000000025084: 7E624131
	s_waitcnt lgkmcnt(0)                                       // 000000025088: BF8CC07F
	s_barrier                                                  // 00000002508C: BF8A0000
	ds_read_b32 v64, v7 offset:20992                           // 000000025090: D86C5200 40000007
	ds_read_b32 v65, v7 offset:21056                           // 000000025098: D86C5240 41000007
	ds_read_b32 v66, v7 offset:21120                           // 0000000250A0: D86C5280 42000007
	ds_read_b32 v67, v7 offset:21184                           // 0000000250A8: D86C52C0 43000007
	ds_read_b32 v68, v7 offset:21248                           // 0000000250B0: D86C5300 44000007
	ds_read_b32 v69, v7 offset:21312                           // 0000000250B8: D86C5340 45000007
	ds_read_b32 v70, v7 offset:21376                           // 0000000250C0: D86C5380 46000007
	ds_read_b32 v71, v7 offset:21440                           // 0000000250C8: D86C53C0 47000007
	ds_read_b32 v72, v7 offset:21504                           // 0000000250D0: D86C5400 48000007
	ds_read_b32 v73, v7 offset:21568                           // 0000000250D8: D86C5440 49000007
	ds_read_b32 v74, v7 offset:21632                           // 0000000250E0: D86C5480 4A000007
	ds_read_b32 v75, v7 offset:21696                           // 0000000250E8: D86C54C0 4B000007
	ds_read_b32 v76, v7 offset:21760                           // 0000000250F0: D86C5500 4C000007
	ds_read_b32 v77, v7 offset:21824                           // 0000000250F8: D86C5540 4D000007
	ds_read_b32 v78, v7 offset:21888                           // 000000025100: D86C5580 4E000007
	ds_read_b32 v79, v7 offset:21952                           // 000000025108: D86C55C0 4F000007
	v_mul_f32_e32 v38, v49, v38                                // 000000025110: 0A4C4D31
	v_mov_b32_e32 v15, v112                                    // 000000025114: 7E1E0370
	v_add_f32_e32 v15, v113, v15                               // 000000025118: 021E1F71
	v_add_f32_e32 v15, v114, v15                               // 00000002511C: 021E1F72
	v_add_f32_e32 v15, v115, v15                               // 000000025120: 021E1F73
	v_add_f32_e32 v15, v116, v15                               // 000000025124: 021E1F74
	v_add_f32_e32 v15, v117, v15                               // 000000025128: 021E1F75
	v_add_f32_e32 v15, v118, v15                               // 00000002512C: 021E1F76
	v_add_f32_e32 v15, v119, v15                               // 000000025130: 021E1F77
	v_add_f32_e32 v15, v120, v15                               // 000000025134: 021E1F78
	v_add_f32_e32 v15, v121, v15                               // 000000025138: 021E1F79
	v_add_f32_e32 v15, v122, v15                               // 00000002513C: 021E1F7A
	v_add_f32_e32 v15, v123, v15                               // 000000025140: 021E1F7B
	v_add_f32_e32 v15, v124, v15                               // 000000025144: 021E1F7C
	v_add_f32_e32 v15, v125, v15                               // 000000025148: 021E1F7D
	v_add_f32_e32 v15, v126, v15                               // 00000002514C: 021E1F7E
	v_add_f32_e32 v15, v127, v15                               // 000000025150: 021E1F7F
	v_add_f32_e32 v38, v15, v38                                // 000000025154: 024C4D0F
	s_waitcnt lgkmcnt(0)                                       // 000000025158: BF8CC07F
	v_max3_f32 v48, |v64|, |v65|, v48                          // 00000002515C: D1D30330 04C28340
	v_max3_f32 v48, |v66|, |v67|, v48                          // 000000025164: D1D30330 04C28742
	v_max3_f32 v48, |v68|, |v69|, v48                          // 00000002516C: D1D30330 04C28B44
	v_max3_f32 v48, |v70|, |v71|, v48                          // 000000025174: D1D30330 04C28F46
	v_max3_f32 v48, |v72|, |v73|, v48                          // 00000002517C: D1D30330 04C29348
	v_max3_f32 v48, |v74|, |v75|, v48                          // 000000025184: D1D30330 04C2974A
	v_max3_f32 v48, |v76|, |v77|, v48                          // 00000002518C: D1D30330 04C29B4C
	v_max3_f32 v48, |v78|, |v79|, v48                          // 000000025194: D1D30330 04C29F4E
	s_nop 2                                                    // 00000002519C: BF800002
	v_rcp_f32_e32 v48, v48                                     // 0000000251A0: 7E604530
	s_nop 1                                                    // 0000000251A4: BF800001
	v_mul_f32_e32 v48, 0x43e00000, v48                         // 0000000251A8: 0A6060FF 43E00000
	v_mul_f32_e32 v112, v48, v240                              // 0000000251B0: 0AE1E130
	v_mul_f32_e32 v113, v48, v241                              // 0000000251B4: 0AE3E330
	v_mul_f32_e32 v114, v48, v242                              // 0000000251B8: 0AE5E530
	v_mul_f32_e32 v115, v48, v243                              // 0000000251BC: 0AE7E730
	v_mul_f32_e32 v116, v48, v244                              // 0000000251C0: 0AE9E930
	v_mul_f32_e32 v117, v48, v245                              // 0000000251C4: 0AEBEB30
	v_mul_f32_e32 v118, v48, v246                              // 0000000251C8: 0AEDED30
	v_mul_f32_e32 v119, v48, v247                              // 0000000251CC: 0AEFEF30
	v_mul_f32_e32 v120, v48, v248                              // 0000000251D0: 0AF1F130
	v_mul_f32_e32 v121, v48, v249                              // 0000000251D4: 0AF3F330
	v_mul_f32_e32 v122, v48, v250                              // 0000000251D8: 0AF5F530
	v_mul_f32_e32 v123, v48, v251                              // 0000000251DC: 0AF7F730
	v_mul_f32_e32 v124, v48, v252                              // 0000000251E0: 0AF9F930
	v_mul_f32_e32 v125, v48, v253                              // 0000000251E4: 0AFBFB30
	v_mul_f32_e32 v126, v48, v254                              // 0000000251E8: 0AFDFD30
	v_mul_f32_e32 v127, v48, v255                              // 0000000251EC: 0AFFFF30
	v_cvt_pk_fp8_f32 v112, v112, v113                          // 0000000251F0: D2A20070 0002E370
	v_cvt_pk_fp8_f32 v112, v114, v115 op_sel:[0,0,1]           // 0000000251F8: D2A24070 0002E772
	v_cvt_pk_fp8_f32 v113, v116, v117                          // 000000025200: D2A20071 0002EB74
	v_cvt_pk_fp8_f32 v113, v118, v119 op_sel:[0,0,1]           // 000000025208: D2A24071 0002EF76
	v_cvt_pk_fp8_f32 v114, v120, v121                          // 000000025210: D2A20072 0002F378
	v_cvt_pk_fp8_f32 v114, v122, v123 op_sel:[0,0,1]           // 000000025218: D2A24072 0002F77A
	v_cvt_pk_fp8_f32 v115, v124, v125                          // 000000025220: D2A20073 0002FB7C
	v_cvt_pk_fp8_f32 v115, v126, v127 op_sel:[0,0,1]           // 000000025228: D2A24073 0002FF7E
	ds_write_b32 v10, v112 offset:25088                        // 000000025230: D81A6200 0000700A
	ds_write_b32 v10, v113 offset:26112                        // 000000025238: D81A6600 0000710A
	ds_write_b32 v10, v114 offset:27136                        // 000000025240: D81A6A00 0000720A
	ds_write_b32 v10, v115 offset:28160                        // 000000025248: D81A6E00 0000730A
	v_add_f32_e32 v208, v208, v176                             // 000000025250: 03A161D0
	v_add_f32_e32 v209, v209, v177                             // 000000025254: 03A363D1
	v_add_f32_e32 v210, v210, v178                             // 000000025258: 03A565D2
	v_add_f32_e32 v211, v211, v179                             // 00000002525C: 03A767D3
	v_add_f32_e32 v212, v212, v180                             // 000000025260: 03A969D4
	v_add_f32_e32 v213, v213, v181                             // 000000025264: 03AB6BD5
	v_add_f32_e32 v214, v214, v182                             // 000000025268: 03AD6DD6
	v_add_f32_e32 v215, v215, v183                             // 00000002526C: 03AF6FD7
	v_rcp_f32_e32 v44, v48                                     // 000000025270: 7E584530
	s_waitcnt lgkmcnt(0)                                       // 000000025274: BF8CC07F
	s_barrier                                                  // 000000025278: BF8A0000
	ds_read_b64 v[112:113], v9 offset:25088                    // 00000002527C: D8EC6200 70000009
	ds_read_b64 v[114:115], v9 offset:25216                    // 000000025284: D8EC6280 72000009
	ds_read_b64 v[116:117], v9 offset:26112                    // 00000002528C: D8EC6600 74000009
	ds_read_b64 v[118:119], v9 offset:26240                    // 000000025294: D8EC6680 76000009
	ds_read_b64 v[120:121], v9 offset:27136                    // 00000002529C: D8EC6A00 78000009
	ds_read_b64 v[122:123], v9 offset:27264                    // 0000000252A4: D8EC6A80 7A000009
	ds_read_b64 v[124:125], v9 offset:28160                    // 0000000252AC: D8EC6E00 7C000009
	ds_read_b64 v[126:127], v9 offset:28288                    // 0000000252B4: D8EC6E80 7E000009
	v_mov_b32_dpp v64, v43 row_shr:4 row_mask:0xf bank_mask:0xf// 0000000252BC: 7E8002FA FF01142B
	v_mov_b32_dpp v65, v43 row_shl:4 row_mask:0xf bank_mask:0xf// 0000000252C4: 7E8202FA FF01042B
	v_cndmask_b32_e64 v248, v43, v64, s[44:45]                 // 0000000252CC: D10000F8 00B2812B
	v_cndmask_b32_e64 v249, v65, v43, s[44:45]                 // 0000000252D4: D10000F9 00B25741
	v_mov_b32_dpp v64, v248 row_shr:8 row_mask:0xf bank_mask:0xf// 0000000252DC: 7E8002FA FF0118F8
	v_mov_b32_dpp v65, v248 row_shl:8 row_mask:0xf bank_mask:0xf// 0000000252E4: 7E8202FA FF0108F8
	v_mov_b32_dpp v66, v249 row_shr:8 row_mask:0xf bank_mask:0xf// 0000000252EC: 7E8402FA FF0118F9
	v_mov_b32_dpp v67, v249 row_shl:8 row_mask:0xf bank_mask:0xf// 0000000252F4: 7E8602FA FF0108F9
	v_mov_b32_e32 v68, v248                                    // 0000000252FC: 7E8803F8
	v_mov_b32_e32 v69, v249                                    // 000000025300: 7E8A03F9
	v_cndmask_b32_e64 v248, v68, v64, s[42:43]                 // 000000025304: D10000F8 00AA8144
	v_cndmask_b32_e64 v250, v68, v65, s[78:79]                 // 00000002530C: D10000FA 013A8344
	v_cndmask_b32_e64 v249, v69, v66, s[42:43]                 // 000000025314: D10000F9 00AA8545
	v_cndmask_b32_e64 v251, v69, v67, s[78:79]                 // 00000002531C: D10000FB 013A8745
	v_mov_b32_dpp v64, v58 row_shr:4 row_mask:0xf bank_mask:0xf// 000000025324: 7E8002FA FF01143A
	v_mov_b32_dpp v65, v58 row_shl:4 row_mask:0xf bank_mask:0xf// 00000002532C: 7E8202FA FF01043A
	v_cndmask_b32_e64 v252, v58, v64, s[44:45]                 // 000000025334: D10000FC 00B2813A
	v_cndmask_b32_e64 v253, v65, v58, s[44:45]                 // 00000002533C: D10000FD 00B27541
	v_mov_b32_dpp v64, v252 row_shr:8 row_mask:0xf bank_mask:0xf// 000000025344: 7E8002FA FF0118FC
	v_mov_b32_dpp v65, v252 row_shl:8 row_mask:0xf bank_mask:0xf// 00000002534C: 7E8202FA FF0108FC
	v_mov_b32_dpp v66, v253 row_shr:8 row_mask:0xf bank_mask:0xf// 000000025354: 7E8402FA FF0118FD
	v_mov_b32_dpp v67, v253 row_shl:8 row_mask:0xf bank_mask:0xf// 00000002535C: 7E8602FA FF0108FD
	v_mov_b32_e32 v68, v252                                    // 000000025364: 7E8803FC
	v_mov_b32_e32 v69, v253                                    // 000000025368: 7E8A03FD
	v_cndmask_b32_e64 v252, v68, v64, s[42:43]                 // 00000002536C: D10000FC 00AA8144
	v_cndmask_b32_e64 v254, v68, v65, s[78:79]                 // 000000025374: D10000FE 013A8344
	v_cndmask_b32_e64 v253, v69, v66, s[42:43]                 // 00000002537C: D10000FD 00AA8545
	v_cndmask_b32_e64 v255, v69, v67, s[78:79]                 // 000000025384: D10000FF 013A8745
	v_mul_f32_e32 v128, v19, v128                              // 00000002538C: 0B010113
	v_mul_f32_e32 v129, v19, v129                              // 000000025390: 0B030313
	v_mul_f32_e32 v130, v19, v130                              // 000000025394: 0B050513
	v_mul_f32_e32 v131, v19, v131                              // 000000025398: 0B070713
	v_mul_f32_e32 v132, v19, v132                              // 00000002539C: 0B090913
	v_mul_f32_e32 v133, v19, v133                              // 0000000253A0: 0B0B0B13
	v_mul_f32_e32 v134, v19, v134                              // 0000000253A4: 0B0D0D13
	v_mul_f32_e32 v135, v19, v135                              // 0000000253A8: 0B0F0F13
	v_mul_f32_e32 v136, v19, v136                              // 0000000253AC: 0B111113
	v_mul_f32_e32 v137, v19, v137                              // 0000000253B0: 0B131313
	v_mul_f32_e32 v138, v19, v138                              // 0000000253B4: 0B151513
	v_mul_f32_e32 v139, v19, v139                              // 0000000253B8: 0B171713
	v_mul_f32_e32 v140, v19, v140                              // 0000000253BC: 0B191913
	v_mul_f32_e32 v141, v19, v141                              // 0000000253C0: 0B1B1B13
	v_mul_f32_e32 v142, v19, v142                              // 0000000253C4: 0B1D1D13
	v_mul_f32_e32 v143, v19, v143                              // 0000000253C8: 0B1F1F13
	v_mul_f32_dpp v128, v248, v128 quad_perm:[0,0,0,0] row_mask:0xf bank_mask:0xf// 0000000253CC: 0B0100FA FF0000F8
	v_mul_f32_dpp v129, v248, v129 quad_perm:[1,1,1,1] row_mask:0xf bank_mask:0xf// 0000000253D4: 0B0302FA FF0055F8
	v_mul_f32_dpp v130, v248, v130 quad_perm:[2,2,2,2] row_mask:0xf bank_mask:0xf// 0000000253DC: 0B0504FA FF00AAF8
	v_mul_f32_dpp v131, v248, v131 quad_perm:[3,3,3,3] row_mask:0xf bank_mask:0xf// 0000000253E4: 0B0706FA FF00FFF8
	v_mul_f32_dpp v132, v249, v132 quad_perm:[0,0,0,0] row_mask:0xf bank_mask:0xf// 0000000253EC: 0B0908FA FF0000F9
	v_mul_f32_dpp v133, v249, v133 quad_perm:[1,1,1,1] row_mask:0xf bank_mask:0xf// 0000000253F4: 0B0B0AFA FF0055F9
	v_mul_f32_dpp v134, v249, v134 quad_perm:[2,2,2,2] row_mask:0xf bank_mask:0xf// 0000000253FC: 0B0D0CFA FF00AAF9
	v_mul_f32_dpp v135, v249, v135 quad_perm:[3,3,3,3] row_mask:0xf bank_mask:0xf// 000000025404: 0B0F0EFA FF00FFF9
	v_mul_f32_dpp v136, v250, v136 quad_perm:[0,0,0,0] row_mask:0xf bank_mask:0xf// 00000002540C: 0B1110FA FF0000FA
	v_mul_f32_dpp v137, v250, v137 quad_perm:[1,1,1,1] row_mask:0xf bank_mask:0xf// 000000025414: 0B1312FA FF0055FA
	v_mul_f32_dpp v138, v250, v138 quad_perm:[2,2,2,2] row_mask:0xf bank_mask:0xf// 00000002541C: 0B1514FA FF00AAFA
	v_mul_f32_dpp v139, v250, v139 quad_perm:[3,3,3,3] row_mask:0xf bank_mask:0xf// 000000025424: 0B1716FA FF00FFFA
	v_mul_f32_dpp v140, v251, v140 quad_perm:[0,0,0,0] row_mask:0xf bank_mask:0xf// 00000002542C: 0B1918FA FF0000FB
	v_mul_f32_dpp v141, v251, v141 quad_perm:[1,1,1,1] row_mask:0xf bank_mask:0xf// 000000025434: 0B1B1AFA FF0055FB
	v_mul_f32_dpp v142, v251, v142 quad_perm:[2,2,2,2] row_mask:0xf bank_mask:0xf// 00000002543C: 0B1D1CFA FF00AAFB
	v_mul_f32_dpp v143, v251, v143 quad_perm:[3,3,3,3] row_mask:0xf bank_mask:0xf// 000000025444: 0B1F1EFA FF00FFFB
	s_and_b32 s60, s72, 0xff                                   // 00000002544C: 863CFF48 000000FF
	v_mov_b32_e32 v65, s60                                     // 000000025454: 7E82023C
	v_lshrrev_b32_e32 v240, 4, v0                              // 000000025458: 21E00084
	v_mul_i32_i24_e32 v240, 4, v240                            // 00000002545C: 0DE1E084
	s_mul_i32 s60, s7, 16                                      // 000000025460: 923C9007
	v_add_u32_e32 v240, s60, v240                              // 000000025464: 69E1E03C
	v_add_u32_e32 v241, 1, v240                                // 000000025468: 69E3E081
	v_add_u32_e32 v242, 2, v240                                // 00000002546C: 69E5E082
	v_add_u32_e32 v243, 3, v240                                // 000000025470: 69E7E083
	v_mov_b32_e32 v64, 0xff800000                              // 000000025474: 7E8002FF FF800000
	v_cmp_lt_u32_e64 s[40:41], v240, v65                       // 00000002547C: D0C90028 000283F0
	v_add_u32_e32 v240, 64, v240                               // 000000025484: 69E1E0C0
	s_nop 0                                                    // 000000025488: BF800000
	v_cndmask_b32_e64 v128, v64, v128, s[40:41]                // 00000002548C: D1000080 00A30140
	v_cmp_lt_u32_e64 s[40:41], v241, v65                       // 000000025494: D0C90028 000283F1
	v_add_u32_e32 v241, 64, v241                               // 00000002549C: 69E3E2C0
	s_nop 0                                                    // 0000000254A0: BF800000
	v_cndmask_b32_e64 v129, v64, v129, s[40:41]                // 0000000254A4: D1000081 00A30340
	v_cmp_lt_u32_e64 s[40:41], v242, v65                       // 0000000254AC: D0C90028 000283F2
	v_add_u32_e32 v242, 64, v242                               // 0000000254B4: 69E5E4C0
	s_nop 0                                                    // 0000000254B8: BF800000
	v_cndmask_b32_e64 v130, v64, v130, s[40:41]                // 0000000254BC: D1000082 00A30540
	v_cmp_lt_u32_e64 s[40:41], v243, v65                       // 0000000254C4: D0C90028 000283F3
	v_add_u32_e32 v243, 64, v243                               // 0000000254CC: 69E7E6C0
	s_nop 0                                                    // 0000000254D0: BF800000
	v_cndmask_b32_e64 v131, v64, v131, s[40:41]                // 0000000254D4: D1000083 00A30740
	v_cmp_lt_u32_e64 s[40:41], v240, v65                       // 0000000254DC: D0C90028 000283F0
	v_add_u32_e32 v240, 64, v240                               // 0000000254E4: 69E1E0C0
	s_nop 0                                                    // 0000000254E8: BF800000
	v_cndmask_b32_e64 v132, v64, v132, s[40:41]                // 0000000254EC: D1000084 00A30940
	v_cmp_lt_u32_e64 s[40:41], v241, v65                       // 0000000254F4: D0C90028 000283F1
	v_add_u32_e32 v241, 64, v241                               // 0000000254FC: 69E3E2C0
	s_nop 0                                                    // 000000025500: BF800000
	v_cndmask_b32_e64 v133, v64, v133, s[40:41]                // 000000025504: D1000085 00A30B40
	v_cmp_lt_u32_e64 s[40:41], v242, v65                       // 00000002550C: D0C90028 000283F2
	v_add_u32_e32 v242, 64, v242                               // 000000025514: 69E5E4C0
	s_nop 0                                                    // 000000025518: BF800000
	v_cndmask_b32_e64 v134, v64, v134, s[40:41]                // 00000002551C: D1000086 00A30D40
	v_cmp_lt_u32_e64 s[40:41], v243, v65                       // 000000025524: D0C90028 000283F3
	v_add_u32_e32 v243, 64, v243                               // 00000002552C: 69E7E6C0
	s_nop 0                                                    // 000000025530: BF800000
	v_cndmask_b32_e64 v135, v64, v135, s[40:41]                // 000000025534: D1000087 00A30F40
	v_cmp_lt_u32_e64 s[40:41], v240, v65                       // 00000002553C: D0C90028 000283F0
	v_add_u32_e32 v240, 64, v240                               // 000000025544: 69E1E0C0
	s_nop 0                                                    // 000000025548: BF800000
	v_cndmask_b32_e64 v136, v64, v136, s[40:41]                // 00000002554C: D1000088 00A31140
	v_cmp_lt_u32_e64 s[40:41], v241, v65                       // 000000025554: D0C90028 000283F1
	v_add_u32_e32 v241, 64, v241                               // 00000002555C: 69E3E2C0
	s_nop 0                                                    // 000000025560: BF800000
	v_cndmask_b32_e64 v137, v64, v137, s[40:41]                // 000000025564: D1000089 00A31340
	v_cmp_lt_u32_e64 s[40:41], v242, v65                       // 00000002556C: D0C90028 000283F2
	v_add_u32_e32 v242, 64, v242                               // 000000025574: 69E5E4C0
	s_nop 0                                                    // 000000025578: BF800000
	v_cndmask_b32_e64 v138, v64, v138, s[40:41]                // 00000002557C: D100008A 00A31540
	v_cmp_lt_u32_e64 s[40:41], v243, v65                       // 000000025584: D0C90028 000283F3
	v_add_u32_e32 v243, 64, v243                               // 00000002558C: 69E7E6C0
	s_nop 0                                                    // 000000025590: BF800000
	v_cndmask_b32_e64 v139, v64, v139, s[40:41]                // 000000025594: D100008B 00A31740
	v_cmp_lt_u32_e64 s[40:41], v240, v65                       // 00000002559C: D0C90028 000283F0
	v_add_u32_e32 v240, 64, v240                               // 0000000255A4: 69E1E0C0
	s_nop 0                                                    // 0000000255A8: BF800000
	v_cndmask_b32_e64 v140, v64, v140, s[40:41]                // 0000000255AC: D100008C 00A31940
	v_cmp_lt_u32_e64 s[40:41], v241, v65                       // 0000000255B4: D0C90028 000283F1
	v_add_u32_e32 v241, 64, v241                               // 0000000255BC: 69E3E2C0
	s_nop 0                                                    // 0000000255C0: BF800000
	v_cndmask_b32_e64 v141, v64, v141, s[40:41]                // 0000000255C4: D100008D 00A31B40
	v_cmp_lt_u32_e64 s[40:41], v242, v65                       // 0000000255CC: D0C90028 000283F2
	v_add_u32_e32 v242, 64, v242                               // 0000000255D4: 69E5E4C0
	s_nop 0                                                    // 0000000255D8: BF800000
	v_cndmask_b32_e64 v142, v64, v142, s[40:41]                // 0000000255DC: D100008E 00A31D40
	v_cmp_lt_u32_e64 s[40:41], v243, v65                       // 0000000255E4: D0C90028 000283F3
	v_add_u32_e32 v243, 64, v243                               // 0000000255EC: 69E7E6C0
	s_nop 0                                                    // 0000000255F0: BF800000
	v_cndmask_b32_e64 v143, v64, v143, s[40:41]                // 0000000255F4: D100008F 00A31F40
	v_mov_b32_e32 v48, v128                                    // 0000000255FC: 7E600380
	v_max3_f32 v48, v128, v129, v48                            // 000000025600: D1D30030 04C30380
	v_max3_f32 v48, v130, v131, v48                            // 000000025608: D1D30030 04C30782
	v_max3_f32 v48, v132, v133, v48                            // 000000025610: D1D30030 04C30B84
	v_max3_f32 v48, v134, v135, v48                            // 000000025618: D1D30030 04C30F86
	v_max3_f32 v48, v136, v137, v48                            // 000000025620: D1D30030 04C31388
	v_max3_f32 v48, v138, v139, v48                            // 000000025628: D1D30030 04C3178A
	v_max3_f32 v48, v140, v141, v48                            // 000000025630: D1D30030 04C31B8C
	v_max3_f32 v48, v142, v143, v48                            // 000000025638: D1D30030 04C31F8E
	ds_write_b32 v8, v48 offset:16896                          // 000000025640: D81A4200 00003008
	v_mul_f32_e32 v216, v50, v216                              // 000000025648: 0BB1B132
	v_mul_f32_e32 v217, v50, v217                              // 00000002564C: 0BB3B332
	v_mul_f32_e32 v218, v50, v218                              // 000000025650: 0BB5B532
	v_mul_f32_e32 v219, v50, v219                              // 000000025654: 0BB7B732
	v_mul_f32_e32 v220, v50, v220                              // 000000025658: 0BB9B932
	v_mul_f32_e32 v221, v50, v221                              // 00000002565C: 0BBBBB32
	v_mul_f32_e32 v222, v50, v222                              // 000000025660: 0BBDBD32
	v_mul_f32_e32 v223, v50, v223                              // 000000025664: 0BBFBF32
	s_waitcnt lgkmcnt(0)                                       // 000000025668: BF8CC07F
	s_barrier                                                  // 00000002566C: BF8A0000
	ds_read_b32 v64, v7 offset:16896                           // 000000025670: D86C4200 40000007
	ds_read_b32 v65, v7 offset:16960                           // 000000025678: D86C4240 41000007
	ds_read_b32 v66, v7 offset:17024                           // 000000025680: D86C4280 42000007
	ds_read_b32 v67, v7 offset:17088                           // 000000025688: D86C42C0 43000007
	ds_read_b32 v68, v7 offset:17152                           // 000000025690: D86C4300 44000007
	ds_read_b32 v69, v7 offset:17216                           // 000000025698: D86C4340 45000007
	ds_read_b32 v70, v7 offset:17280                           // 0000000256A0: D86C4380 46000007
	ds_read_b32 v71, v7 offset:17344                           // 0000000256A8: D86C43C0 47000007
	ds_read_b32 v72, v7 offset:17408                           // 0000000256B0: D86C4400 48000007
	ds_read_b32 v73, v7 offset:17472                           // 0000000256B8: D86C4440 49000007
	ds_read_b32 v74, v7 offset:17536                           // 0000000256C0: D86C4480 4A000007
	ds_read_b32 v75, v7 offset:17600                           // 0000000256C8: D86C44C0 4B000007
	ds_read_b32 v76, v7 offset:17664                           // 0000000256D0: D86C4500 4C000007
	ds_read_b32 v77, v7 offset:17728                           // 0000000256D8: D86C4540 4D000007
	ds_read_b32 v78, v7 offset:17792                           // 0000000256E0: D86C4580 4E000007
	ds_read_b32 v79, v7 offset:17856                           // 0000000256E8: D86C45C0 4F000007
	v_mul_f32_e32 v184, v45, v184                              // 0000000256F0: 0B71712D
	v_mul_f32_e32 v185, v45, v185                              // 0000000256F4: 0B73732D
	v_mul_f32_e32 v186, v45, v186                              // 0000000256F8: 0B75752D
	v_mul_f32_e32 v187, v45, v187                              // 0000000256FC: 0B77772D
	v_mul_f32_e32 v188, v45, v188                              // 000000025700: 0B79792D
	v_mul_f32_e32 v189, v45, v189                              // 000000025704: 0B7B7B2D
	v_mul_f32_e32 v190, v45, v190                              // 000000025708: 0B7D7D2D
	v_mul_f32_e32 v191, v45, v191                              // 00000002570C: 0B7F7F2D
	s_waitcnt lgkmcnt(0)                                       // 000000025710: BF8CC07F
	v_max3_f32 v48, v64, v65, v48                              // 000000025714: D1D30030 04C28340
	v_max3_f32 v48, v66, v67, v48                              // 00000002571C: D1D30030 04C28742
	v_max3_f32 v48, v68, v69, v48                              // 000000025724: D1D30030 04C28B44
	v_max3_f32 v48, v70, v71, v48                              // 00000002572C: D1D30030 04C28F46
	v_max3_f32 v48, v72, v73, v48                              // 000000025734: D1D30030 04C29348
	v_max3_f32 v48, v74, v75, v48                              // 00000002573C: D1D30030 04C2974A
	v_max3_f32 v48, v76, v77, v48                              // 000000025744: D1D30030 04C29B4C
	v_max3_f32 v48, v78, v79, v48                              // 00000002574C: D1D30030 04C29F4E
	v_mov_b32_e32 v64, 0xff800000                              // 000000025754: 7E8002FF FF800000
	v_cmp_eq_u32_e64 s[40:41], v64, v12                        // 00000002575C: D0CA0028 00021940
	s_nop 1                                                    // 000000025764: BF800001
	v_max_f32_e32 v15, v48, v12                                // 000000025768: 161E1930
	v_mul_f32_e32 v53, s64, v15                                // 00000002576C: 0A6A1E40
	v_fma_f32 v128, v128, s64, -v53                            // 000000025770: D1CB0080 84D48180
	v_fma_f32 v129, v129, s64, -v53                            // 000000025778: D1CB0081 84D48181
	v_fma_f32 v130, v130, s64, -v53                            // 000000025780: D1CB0082 84D48182
	v_fma_f32 v131, v131, s64, -v53                            // 000000025788: D1CB0083 84D48183
	v_fma_f32 v132, v132, s64, -v53                            // 000000025790: D1CB0084 84D48184
	v_fma_f32 v133, v133, s64, -v53                            // 000000025798: D1CB0085 84D48185
	v_fma_f32 v134, v134, s64, -v53                            // 0000000257A0: D1CB0086 84D48186
	v_fma_f32 v135, v135, s64, -v53                            // 0000000257A8: D1CB0087 84D48187
	v_fma_f32 v136, v136, s64, -v53                            // 0000000257B0: D1CB0088 84D48188
	v_fma_f32 v137, v137, s64, -v53                            // 0000000257B8: D1CB0089 84D48189
	v_fma_f32 v138, v138, s64, -v53                            // 0000000257C0: D1CB008A 84D4818A
	v_fma_f32 v139, v139, s64, -v53                            // 0000000257C8: D1CB008B 84D4818B
	v_fma_f32 v140, v140, s64, -v53                            // 0000000257D0: D1CB008C 84D4818C
	v_fma_f32 v141, v141, s64, -v53                            // 0000000257D8: D1CB008D 84D4818D
	v_fma_f32 v142, v142, s64, -v53                            // 0000000257E0: D1CB008E 84D4818E
	v_fma_f32 v143, v143, s64, -v53                            // 0000000257E8: D1CB008F 84D4818F
	v_exp_f32_e32 v128, v128                                   // 0000000257F0: 7F004180
	v_exp_f32_e32 v129, v129                                   // 0000000257F4: 7F024181
	v_exp_f32_e32 v130, v130                                   // 0000000257F8: 7F044182
	v_exp_f32_e32 v131, v131                                   // 0000000257FC: 7F064183
	v_exp_f32_e32 v132, v132                                   // 000000025800: 7F084184
	v_exp_f32_e32 v133, v133                                   // 000000025804: 7F0A4185
	v_exp_f32_e32 v134, v134                                   // 000000025808: 7F0C4186
	v_exp_f32_e32 v135, v135                                   // 00000002580C: 7F0E4187
	v_exp_f32_e32 v136, v136                                   // 000000025810: 7F104188
	v_exp_f32_e32 v137, v137                                   // 000000025814: 7F124189
	v_exp_f32_e32 v138, v138                                   // 000000025818: 7F14418A
	v_exp_f32_e32 v139, v139                                   // 00000002581C: 7F16418B
	v_exp_f32_e32 v140, v140                                   // 000000025820: 7F18418C
	v_exp_f32_e32 v141, v141                                   // 000000025824: 7F1A418D
	v_exp_f32_e32 v142, v142                                   // 000000025828: 7F1C418E
	v_exp_f32_e32 v143, v143                                   // 00000002582C: 7F1E418F
	v_mul_f32_dpp v240, v252, v128 quad_perm:[0,0,0,0] row_mask:0xf bank_mask:0xf// 000000025830: 0BE100FA FF0000FC
	v_mul_f32_dpp v241, v252, v129 quad_perm:[1,1,1,1] row_mask:0xf bank_mask:0xf// 000000025838: 0BE302FA FF0055FC
	v_mul_f32_dpp v242, v252, v130 quad_perm:[2,2,2,2] row_mask:0xf bank_mask:0xf// 000000025840: 0BE504FA FF00AAFC
	v_mul_f32_dpp v243, v252, v131 quad_perm:[3,3,3,3] row_mask:0xf bank_mask:0xf// 000000025848: 0BE706FA FF00FFFC
	v_mul_f32_dpp v244, v253, v132 quad_perm:[0,0,0,0] row_mask:0xf bank_mask:0xf// 000000025850: 0BE908FA FF0000FD
	v_mul_f32_dpp v245, v253, v133 quad_perm:[1,1,1,1] row_mask:0xf bank_mask:0xf// 000000025858: 0BEB0AFA FF0055FD
	v_mul_f32_dpp v246, v253, v134 quad_perm:[2,2,2,2] row_mask:0xf bank_mask:0xf// 000000025860: 0BED0CFA FF00AAFD
	v_mul_f32_dpp v247, v253, v135 quad_perm:[3,3,3,3] row_mask:0xf bank_mask:0xf// 000000025868: 0BEF0EFA FF00FFFD
	v_mul_f32_dpp v248, v254, v136 quad_perm:[0,0,0,0] row_mask:0xf bank_mask:0xf// 000000025870: 0BF110FA FF0000FE
	v_mul_f32_dpp v249, v254, v137 quad_perm:[1,1,1,1] row_mask:0xf bank_mask:0xf// 000000025878: 0BF312FA FF0055FE
	v_mul_f32_dpp v250, v254, v138 quad_perm:[2,2,2,2] row_mask:0xf bank_mask:0xf// 000000025880: 0BF514FA FF00AAFE
	v_mul_f32_dpp v251, v254, v139 quad_perm:[3,3,3,3] row_mask:0xf bank_mask:0xf// 000000025888: 0BF716FA FF00FFFE
	v_mul_f32_dpp v252, v255, v140 quad_perm:[0,0,0,0] row_mask:0xf bank_mask:0xf// 000000025890: 0BF918FA FF0000FF
	v_mul_f32_dpp v253, v255, v141 quad_perm:[1,1,1,1] row_mask:0xf bank_mask:0xf// 000000025898: 0BFB1AFA FF0055FF
	v_mul_f32_dpp v254, v255, v142 quad_perm:[2,2,2,2] row_mask:0xf bank_mask:0xf// 0000000258A0: 0BFD1CFA FF00AAFF
	v_mul_f32_dpp v255, v255, v143 quad_perm:[3,3,3,3] row_mask:0xf bank_mask:0xf// 0000000258A8: 0BFF1EFA FF00FFFF
	v_mov_b32_e32 v48, 0x358637bd                              // 0000000258B0: 7E6002FF 358637BD
	v_max3_f32 v48, |v240|, |v241|, v48                        // 0000000258B8: D1D30330 04C3E3F0
	v_max3_f32 v48, |v242|, |v243|, v48                        // 0000000258C0: D1D30330 04C3E7F2
	v_max3_f32 v48, |v244|, |v245|, v48                        // 0000000258C8: D1D30330 04C3EBF4
	v_max3_f32 v48, |v246|, |v247|, v48                        // 0000000258D0: D1D30330 04C3EFF6
	v_max3_f32 v48, |v248|, |v249|, v48                        // 0000000258D8: D1D30330 04C3F3F8
	v_max3_f32 v48, |v250|, |v251|, v48                        // 0000000258E0: D1D30330 04C3F7FA
	v_max3_f32 v48, |v252|, |v253|, v48                        // 0000000258E8: D1D30330 04C3FBFC
	v_max3_f32 v48, |v254|, |v255|, v48                        // 0000000258F0: D1D30330 04C3FFFE
	ds_write_b32 v8, v48 offset:20992                          // 0000000258F8: D81A5200 00003008
	v_sub_f32_e32 v50, v12, v15                                // 000000025900: 04641F0C
	v_cndmask_b32_e64 v50, v50, 0, s[40:41]                    // 000000025904: D1000032 00A10132
	v_mov_b32_e32 v12, v15                                     // 00000002590C: 7E18030F
	v_mul_f32_e32 v50, s64, v50                                // 000000025910: 0A646440
	v_exp_f32_e32 v50, v50                                     // 000000025914: 7E644132
	s_waitcnt lgkmcnt(0)                                       // 000000025918: BF8CC07F
	s_barrier                                                  // 00000002591C: BF8A0000
	ds_read_b32 v64, v7 offset:20992                           // 000000025920: D86C5200 40000007
	ds_read_b32 v65, v7 offset:21056                           // 000000025928: D86C5240 41000007
	ds_read_b32 v66, v7 offset:21120                           // 000000025930: D86C5280 42000007
	ds_read_b32 v67, v7 offset:21184                           // 000000025938: D86C52C0 43000007
	ds_read_b32 v68, v7 offset:21248                           // 000000025940: D86C5300 44000007
	ds_read_b32 v69, v7 offset:21312                           // 000000025948: D86C5340 45000007
	ds_read_b32 v70, v7 offset:21376                           // 000000025950: D86C5380 46000007
	ds_read_b32 v71, v7 offset:21440                           // 000000025958: D86C53C0 47000007
	ds_read_b32 v72, v7 offset:21504                           // 000000025960: D86C5400 48000007
	ds_read_b32 v73, v7 offset:21568                           // 000000025968: D86C5440 49000007
	ds_read_b32 v74, v7 offset:21632                           // 000000025970: D86C5480 4A000007
	ds_read_b32 v75, v7 offset:21696                           // 000000025978: D86C54C0 4B000007
	ds_read_b32 v76, v7 offset:21760                           // 000000025980: D86C5500 4C000007
	ds_read_b32 v77, v7 offset:21824                           // 000000025988: D86C5540 4D000007
	ds_read_b32 v78, v7 offset:21888                           // 000000025990: D86C5580 4E000007
	ds_read_b32 v79, v7 offset:21952                           // 000000025998: D86C55C0 4F000007
	v_mul_f32_e32 v39, v50, v39                                // 0000000259A0: 0A4E4F32
	v_mov_b32_e32 v15, v128                                    // 0000000259A4: 7E1E0380
	v_add_f32_e32 v15, v129, v15                               // 0000000259A8: 021E1F81
	v_add_f32_e32 v15, v130, v15                               // 0000000259AC: 021E1F82
	v_add_f32_e32 v15, v131, v15                               // 0000000259B0: 021E1F83
	v_add_f32_e32 v15, v132, v15                               // 0000000259B4: 021E1F84
	v_add_f32_e32 v15, v133, v15                               // 0000000259B8: 021E1F85
	v_add_f32_e32 v15, v134, v15                               // 0000000259BC: 021E1F86
	v_add_f32_e32 v15, v135, v15                               // 0000000259C0: 021E1F87
	v_add_f32_e32 v15, v136, v15                               // 0000000259C4: 021E1F88
	v_add_f32_e32 v15, v137, v15                               // 0000000259C8: 021E1F89
	v_add_f32_e32 v15, v138, v15                               // 0000000259CC: 021E1F8A
	v_add_f32_e32 v15, v139, v15                               // 0000000259D0: 021E1F8B
	v_add_f32_e32 v15, v140, v15                               // 0000000259D4: 021E1F8C
	v_add_f32_e32 v15, v141, v15                               // 0000000259D8: 021E1F8D
	v_add_f32_e32 v15, v142, v15                               // 0000000259DC: 021E1F8E
	v_add_f32_e32 v15, v143, v15                               // 0000000259E0: 021E1F8F
	v_add_f32_e32 v39, v15, v39                                // 0000000259E4: 024E4F0F
	s_waitcnt lgkmcnt(0)                                       // 0000000259E8: BF8CC07F
	v_max3_f32 v48, |v64|, |v65|, v48                          // 0000000259EC: D1D30330 04C28340
	v_max3_f32 v48, |v66|, |v67|, v48                          // 0000000259F4: D1D30330 04C28742
	v_max3_f32 v48, |v68|, |v69|, v48                          // 0000000259FC: D1D30330 04C28B44
	v_max3_f32 v48, |v70|, |v71|, v48                          // 000000025A04: D1D30330 04C28F46
	v_max3_f32 v48, |v72|, |v73|, v48                          // 000000025A0C: D1D30330 04C29348
	v_max3_f32 v48, |v74|, |v75|, v48                          // 000000025A14: D1D30330 04C2974A
	v_max3_f32 v48, |v76|, |v77|, v48                          // 000000025A1C: D1D30330 04C29B4C
	v_max3_f32 v48, |v78|, |v79|, v48                          // 000000025A24: D1D30330 04C29F4E
	s_nop 2                                                    // 000000025A2C: BF800002
	v_rcp_f32_e32 v48, v48                                     // 000000025A30: 7E604530
	s_nop 1                                                    // 000000025A34: BF800001
	v_mul_f32_e32 v48, 0x43e00000, v48                         // 000000025A38: 0A6060FF 43E00000
	v_mul_f32_e32 v128, v48, v240                              // 000000025A40: 0B01E130
	v_mul_f32_e32 v129, v48, v241                              // 000000025A44: 0B03E330
	v_mul_f32_e32 v130, v48, v242                              // 000000025A48: 0B05E530
	v_mul_f32_e32 v131, v48, v243                              // 000000025A4C: 0B07E730
	v_mul_f32_e32 v132, v48, v244                              // 000000025A50: 0B09E930
	v_mul_f32_e32 v133, v48, v245                              // 000000025A54: 0B0BEB30
	v_mul_f32_e32 v134, v48, v246                              // 000000025A58: 0B0DED30
	v_mul_f32_e32 v135, v48, v247                              // 000000025A5C: 0B0FEF30
	v_mul_f32_e32 v136, v48, v248                              // 000000025A60: 0B11F130
	v_mul_f32_e32 v137, v48, v249                              // 000000025A64: 0B13F330
	v_mul_f32_e32 v138, v48, v250                              // 000000025A68: 0B15F530
	v_mul_f32_e32 v139, v48, v251                              // 000000025A6C: 0B17F730
	v_mul_f32_e32 v140, v48, v252                              // 000000025A70: 0B19F930
	v_mul_f32_e32 v141, v48, v253                              // 000000025A74: 0B1BFB30
	v_mul_f32_e32 v142, v48, v254                              // 000000025A78: 0B1DFD30
	v_mul_f32_e32 v143, v48, v255                              // 000000025A7C: 0B1FFF30
	v_cvt_pk_fp8_f32 v128, v128, v129                          // 000000025A80: D2A20080 00030380
	v_cvt_pk_fp8_f32 v128, v130, v131 op_sel:[0,0,1]           // 000000025A88: D2A24080 00030782
	v_cvt_pk_fp8_f32 v129, v132, v133                          // 000000025A90: D2A20081 00030B84
	v_cvt_pk_fp8_f32 v129, v134, v135 op_sel:[0,0,1]           // 000000025A98: D2A24081 00030F86
	v_cvt_pk_fp8_f32 v130, v136, v137                          // 000000025AA0: D2A20082 00031388
	v_cvt_pk_fp8_f32 v130, v138, v139 op_sel:[0,0,1]           // 000000025AA8: D2A24082 0003178A
	v_cvt_pk_fp8_f32 v131, v140, v141                          // 000000025AB0: D2A20083 00031B8C
	v_cvt_pk_fp8_f32 v131, v142, v143 op_sel:[0,0,1]           // 000000025AB8: D2A24083 00031F8E
	ds_write_b32 v10, v128 offset:29184                        // 000000025AC0: D81A7200 0000800A
	ds_write_b32 v10, v129 offset:30208                        // 000000025AC8: D81A7600 0000810A
	ds_write_b32 v10, v130 offset:31232                        // 000000025AD0: D81A7A00 0000820A
	ds_write_b32 v10, v131 offset:32256                        // 000000025AD8: D81A7E00 0000830A
	v_add_f32_e32 v216, v216, v184                             // 000000025AE0: 03B171D8
	v_add_f32_e32 v217, v217, v185                             // 000000025AE4: 03B373D9
	v_add_f32_e32 v218, v218, v186                             // 000000025AE8: 03B575DA
	v_add_f32_e32 v219, v219, v187                             // 000000025AEC: 03B777DB
	v_add_f32_e32 v220, v220, v188                             // 000000025AF0: 03B979DC
	v_add_f32_e32 v221, v221, v189                             // 000000025AF4: 03BB7BDD
	v_add_f32_e32 v222, v222, v190                             // 000000025AF8: 03BD7DDE
	v_add_f32_e32 v223, v223, v191                             // 000000025AFC: 03BF7FDF
	v_rcp_f32_e32 v45, v48                                     // 000000025B00: 7E5A4530
	s_waitcnt lgkmcnt(0)                                       // 000000025B04: BF8CC07F
	s_barrier                                                  // 000000025B08: BF8A0000
	ds_read_b64 v[128:129], v9 offset:29184                    // 000000025B0C: D8EC7200 80000009
	ds_read_b64 v[130:131], v9 offset:29312                    // 000000025B14: D8EC7280 82000009
	ds_read_b64 v[132:133], v9 offset:30208                    // 000000025B1C: D8EC7600 84000009
	ds_read_b64 v[134:135], v9 offset:30336                    // 000000025B24: D8EC7680 86000009
	ds_read_b64 v[136:137], v9 offset:31232                    // 000000025B2C: D8EC7A00 88000009
	ds_read_b64 v[138:139], v9 offset:31360                    // 000000025B34: D8EC7A80 8A000009
	ds_read_b64 v[140:141], v9 offset:32256                    // 000000025B3C: D8EC7E00 8C000009
	ds_read_b64 v[142:143], v9 offset:32384                    // 000000025B44: D8EC7E80 8E000009
	v_mov_b32_dpp v64, v43 row_shr:4 row_mask:0xf bank_mask:0xf// 000000025B4C: 7E8002FA FF01142B
	v_mov_b32_dpp v65, v43 row_shl:4 row_mask:0xf bank_mask:0xf// 000000025B54: 7E8202FA FF01042B
	v_cndmask_b32_e64 v248, v43, v64, s[44:45]                 // 000000025B5C: D10000F8 00B2812B
	v_cndmask_b32_e64 v249, v65, v43, s[44:45]                 // 000000025B64: D10000F9 00B25741
	v_mov_b32_dpp v64, v248 row_shr:8 row_mask:0xf bank_mask:0xf// 000000025B6C: 7E8002FA FF0118F8
	v_mov_b32_dpp v65, v248 row_shl:8 row_mask:0xf bank_mask:0xf// 000000025B74: 7E8202FA FF0108F8
	v_mov_b32_dpp v66, v249 row_shr:8 row_mask:0xf bank_mask:0xf// 000000025B7C: 7E8402FA FF0118F9
	v_mov_b32_dpp v67, v249 row_shl:8 row_mask:0xf bank_mask:0xf// 000000025B84: 7E8602FA FF0108F9
	v_mov_b32_e32 v68, v248                                    // 000000025B8C: 7E8803F8
	v_mov_b32_e32 v69, v249                                    // 000000025B90: 7E8A03F9
	v_cndmask_b32_e64 v248, v68, v64, s[42:43]                 // 000000025B94: D10000F8 00AA8144
	v_cndmask_b32_e64 v250, v68, v65, s[78:79]                 // 000000025B9C: D10000FA 013A8344
	v_cndmask_b32_e64 v249, v69, v66, s[42:43]                 // 000000025BA4: D10000F9 00AA8545
	v_cndmask_b32_e64 v251, v69, v67, s[78:79]                 // 000000025BAC: D10000FB 013A8745
	v_mov_b32_dpp v64, v58 row_shr:4 row_mask:0xf bank_mask:0xf// 000000025BB4: 7E8002FA FF01143A
	v_mov_b32_dpp v65, v58 row_shl:4 row_mask:0xf bank_mask:0xf// 000000025BBC: 7E8202FA FF01043A
	v_cndmask_b32_e64 v252, v58, v64, s[44:45]                 // 000000025BC4: D10000FC 00B2813A
	v_cndmask_b32_e64 v253, v65, v58, s[44:45]                 // 000000025BCC: D10000FD 00B27541
	v_mov_b32_dpp v64, v252 row_shr:8 row_mask:0xf bank_mask:0xf// 000000025BD4: 7E8002FA FF0118FC
	v_mov_b32_dpp v65, v252 row_shl:8 row_mask:0xf bank_mask:0xf// 000000025BDC: 7E8202FA FF0108FC
	v_mov_b32_dpp v66, v253 row_shr:8 row_mask:0xf bank_mask:0xf// 000000025BE4: 7E8402FA FF0118FD
	v_mov_b32_dpp v67, v253 row_shl:8 row_mask:0xf bank_mask:0xf// 000000025BEC: 7E8602FA FF0108FD
	v_mov_b32_e32 v68, v252                                    // 000000025BF4: 7E8803FC
	v_mov_b32_e32 v69, v253                                    // 000000025BF8: 7E8A03FD
	v_cndmask_b32_e64 v252, v68, v64, s[42:43]                 // 000000025BFC: D10000FC 00AA8144
	v_cndmask_b32_e64 v254, v68, v65, s[78:79]                 // 000000025C04: D10000FE 013A8344
	v_cndmask_b32_e64 v253, v69, v66, s[42:43]                 // 000000025C0C: D10000FD 00AA8545
	v_cndmask_b32_e64 v255, v69, v67, s[78:79]                 // 000000025C14: D10000FF 013A8745
	v_mul_f32_e32 v144, v20, v144                              // 000000025C1C: 0B212114
	v_mul_f32_e32 v145, v20, v145                              // 000000025C20: 0B232314
	v_mul_f32_e32 v146, v20, v146                              // 000000025C24: 0B252514
	v_mul_f32_e32 v147, v20, v147                              // 000000025C28: 0B272714
	v_mul_f32_e32 v148, v20, v148                              // 000000025C2C: 0B292914
	v_mul_f32_e32 v149, v20, v149                              // 000000025C30: 0B2B2B14
	v_mul_f32_e32 v150, v20, v150                              // 000000025C34: 0B2D2D14
	v_mul_f32_e32 v151, v20, v151                              // 000000025C38: 0B2F2F14
	v_mul_f32_e32 v152, v20, v152                              // 000000025C3C: 0B313114
	v_mul_f32_e32 v153, v20, v153                              // 000000025C40: 0B333314
	v_mul_f32_e32 v154, v20, v154                              // 000000025C44: 0B353514
	v_mul_f32_e32 v155, v20, v155                              // 000000025C48: 0B373714
	v_mul_f32_e32 v156, v20, v156                              // 000000025C4C: 0B393914
	v_mul_f32_e32 v157, v20, v157                              // 000000025C50: 0B3B3B14
	v_mul_f32_e32 v158, v20, v158                              // 000000025C54: 0B3D3D14
	v_mul_f32_e32 v159, v20, v159                              // 000000025C58: 0B3F3F14
	v_mul_f32_dpp v144, v248, v144 quad_perm:[0,0,0,0] row_mask:0xf bank_mask:0xf// 000000025C5C: 0B2120FA FF0000F8
	v_mul_f32_dpp v145, v248, v145 quad_perm:[1,1,1,1] row_mask:0xf bank_mask:0xf// 000000025C64: 0B2322FA FF0055F8
	v_mul_f32_dpp v146, v248, v146 quad_perm:[2,2,2,2] row_mask:0xf bank_mask:0xf// 000000025C6C: 0B2524FA FF00AAF8
	v_mul_f32_dpp v147, v248, v147 quad_perm:[3,3,3,3] row_mask:0xf bank_mask:0xf// 000000025C74: 0B2726FA FF00FFF8
	v_mul_f32_dpp v148, v249, v148 quad_perm:[0,0,0,0] row_mask:0xf bank_mask:0xf// 000000025C7C: 0B2928FA FF0000F9
	v_mul_f32_dpp v149, v249, v149 quad_perm:[1,1,1,1] row_mask:0xf bank_mask:0xf// 000000025C84: 0B2B2AFA FF0055F9
	v_mul_f32_dpp v150, v249, v150 quad_perm:[2,2,2,2] row_mask:0xf bank_mask:0xf// 000000025C8C: 0B2D2CFA FF00AAF9
	v_mul_f32_dpp v151, v249, v151 quad_perm:[3,3,3,3] row_mask:0xf bank_mask:0xf// 000000025C94: 0B2F2EFA FF00FFF9
	v_mul_f32_dpp v152, v250, v152 quad_perm:[0,0,0,0] row_mask:0xf bank_mask:0xf// 000000025C9C: 0B3130FA FF0000FA
	v_mul_f32_dpp v153, v250, v153 quad_perm:[1,1,1,1] row_mask:0xf bank_mask:0xf// 000000025CA4: 0B3332FA FF0055FA
	v_mul_f32_dpp v154, v250, v154 quad_perm:[2,2,2,2] row_mask:0xf bank_mask:0xf// 000000025CAC: 0B3534FA FF00AAFA
	v_mul_f32_dpp v155, v250, v155 quad_perm:[3,3,3,3] row_mask:0xf bank_mask:0xf// 000000025CB4: 0B3736FA FF00FFFA
	v_mul_f32_dpp v156, v251, v156 quad_perm:[0,0,0,0] row_mask:0xf bank_mask:0xf// 000000025CBC: 0B3938FA FF0000FB
	v_mul_f32_dpp v157, v251, v157 quad_perm:[1,1,1,1] row_mask:0xf bank_mask:0xf// 000000025CC4: 0B3B3AFA FF0055FB
	v_mul_f32_dpp v158, v251, v158 quad_perm:[2,2,2,2] row_mask:0xf bank_mask:0xf// 000000025CCC: 0B3D3CFA FF00AAFB
	v_mul_f32_dpp v159, v251, v159 quad_perm:[3,3,3,3] row_mask:0xf bank_mask:0xf// 000000025CD4: 0B3F3EFA FF00FFFB
	s_and_b32 s60, s72, 0xff                                   // 000000025CDC: 863CFF48 000000FF
	v_mov_b32_e32 v65, s60                                     // 000000025CE4: 7E82023C
	v_lshrrev_b32_e32 v240, 4, v0                              // 000000025CE8: 21E00084
	v_mul_i32_i24_e32 v240, 4, v240                            // 000000025CEC: 0DE1E084
	s_mul_i32 s60, s7, 16                                      // 000000025CF0: 923C9007
	v_add_u32_e32 v240, s60, v240                              // 000000025CF4: 69E1E03C
	v_add_u32_e32 v241, 1, v240                                // 000000025CF8: 69E3E081
	v_add_u32_e32 v242, 2, v240                                // 000000025CFC: 69E5E082
	v_add_u32_e32 v243, 3, v240                                // 000000025D00: 69E7E083
	v_mov_b32_e32 v64, 0xff800000                              // 000000025D04: 7E8002FF FF800000
	v_cmp_lt_u32_e64 s[40:41], v240, v65                       // 000000025D0C: D0C90028 000283F0
	v_add_u32_e32 v240, 64, v240                               // 000000025D14: 69E1E0C0
	s_nop 0                                                    // 000000025D18: BF800000
	v_cndmask_b32_e64 v144, v64, v144, s[40:41]                // 000000025D1C: D1000090 00A32140
	v_cmp_lt_u32_e64 s[40:41], v241, v65                       // 000000025D24: D0C90028 000283F1
	v_add_u32_e32 v241, 64, v241                               // 000000025D2C: 69E3E2C0
	s_nop 0                                                    // 000000025D30: BF800000
	v_cndmask_b32_e64 v145, v64, v145, s[40:41]                // 000000025D34: D1000091 00A32340
	v_cmp_lt_u32_e64 s[40:41], v242, v65                       // 000000025D3C: D0C90028 000283F2
	v_add_u32_e32 v242, 64, v242                               // 000000025D44: 69E5E4C0
	s_nop 0                                                    // 000000025D48: BF800000
	v_cndmask_b32_e64 v146, v64, v146, s[40:41]                // 000000025D4C: D1000092 00A32540
	v_cmp_lt_u32_e64 s[40:41], v243, v65                       // 000000025D54: D0C90028 000283F3
	v_add_u32_e32 v243, 64, v243                               // 000000025D5C: 69E7E6C0
	s_nop 0                                                    // 000000025D60: BF800000
	v_cndmask_b32_e64 v147, v64, v147, s[40:41]                // 000000025D64: D1000093 00A32740
	v_cmp_lt_u32_e64 s[40:41], v240, v65                       // 000000025D6C: D0C90028 000283F0
	v_add_u32_e32 v240, 64, v240                               // 000000025D74: 69E1E0C0
	s_nop 0                                                    // 000000025D78: BF800000
	v_cndmask_b32_e64 v148, v64, v148, s[40:41]                // 000000025D7C: D1000094 00A32940
	v_cmp_lt_u32_e64 s[40:41], v241, v65                       // 000000025D84: D0C90028 000283F1
	v_add_u32_e32 v241, 64, v241                               // 000000025D8C: 69E3E2C0
	s_nop 0                                                    // 000000025D90: BF800000
	v_cndmask_b32_e64 v149, v64, v149, s[40:41]                // 000000025D94: D1000095 00A32B40
	v_cmp_lt_u32_e64 s[40:41], v242, v65                       // 000000025D9C: D0C90028 000283F2
	v_add_u32_e32 v242, 64, v242                               // 000000025DA4: 69E5E4C0
	s_nop 0                                                    // 000000025DA8: BF800000
	v_cndmask_b32_e64 v150, v64, v150, s[40:41]                // 000000025DAC: D1000096 00A32D40
	v_cmp_lt_u32_e64 s[40:41], v243, v65                       // 000000025DB4: D0C90028 000283F3
	v_add_u32_e32 v243, 64, v243                               // 000000025DBC: 69E7E6C0
	s_nop 0                                                    // 000000025DC0: BF800000
	v_cndmask_b32_e64 v151, v64, v151, s[40:41]                // 000000025DC4: D1000097 00A32F40
	v_cmp_lt_u32_e64 s[40:41], v240, v65                       // 000000025DCC: D0C90028 000283F0
	v_add_u32_e32 v240, 64, v240                               // 000000025DD4: 69E1E0C0
	s_nop 0                                                    // 000000025DD8: BF800000
	v_cndmask_b32_e64 v152, v64, v152, s[40:41]                // 000000025DDC: D1000098 00A33140
	v_cmp_lt_u32_e64 s[40:41], v241, v65                       // 000000025DE4: D0C90028 000283F1
	v_add_u32_e32 v241, 64, v241                               // 000000025DEC: 69E3E2C0
	s_nop 0                                                    // 000000025DF0: BF800000
	v_cndmask_b32_e64 v153, v64, v153, s[40:41]                // 000000025DF4: D1000099 00A33340
	v_cmp_lt_u32_e64 s[40:41], v242, v65                       // 000000025DFC: D0C90028 000283F2
	v_add_u32_e32 v242, 64, v242                               // 000000025E04: 69E5E4C0
	s_nop 0                                                    // 000000025E08: BF800000
	v_cndmask_b32_e64 v154, v64, v154, s[40:41]                // 000000025E0C: D100009A 00A33540
	v_cmp_lt_u32_e64 s[40:41], v243, v65                       // 000000025E14: D0C90028 000283F3
	v_add_u32_e32 v243, 64, v243                               // 000000025E1C: 69E7E6C0
	s_nop 0                                                    // 000000025E20: BF800000
	v_cndmask_b32_e64 v155, v64, v155, s[40:41]                // 000000025E24: D100009B 00A33740
	v_cmp_lt_u32_e64 s[40:41], v240, v65                       // 000000025E2C: D0C90028 000283F0
	v_add_u32_e32 v240, 64, v240                               // 000000025E34: 69E1E0C0
	s_nop 0                                                    // 000000025E38: BF800000
	v_cndmask_b32_e64 v156, v64, v156, s[40:41]                // 000000025E3C: D100009C 00A33940
	v_cmp_lt_u32_e64 s[40:41], v241, v65                       // 000000025E44: D0C90028 000283F1
	v_add_u32_e32 v241, 64, v241                               // 000000025E4C: 69E3E2C0
	s_nop 0                                                    // 000000025E50: BF800000
	v_cndmask_b32_e64 v157, v64, v157, s[40:41]                // 000000025E54: D100009D 00A33B40
	v_cmp_lt_u32_e64 s[40:41], v242, v65                       // 000000025E5C: D0C90028 000283F2
	v_add_u32_e32 v242, 64, v242                               // 000000025E64: 69E5E4C0
	s_nop 0                                                    // 000000025E68: BF800000
	v_cndmask_b32_e64 v158, v64, v158, s[40:41]                // 000000025E6C: D100009E 00A33D40
	v_cmp_lt_u32_e64 s[40:41], v243, v65                       // 000000025E74: D0C90028 000283F3
	v_add_u32_e32 v243, 64, v243                               // 000000025E7C: 69E7E6C0
	s_nop 0                                                    // 000000025E80: BF800000
	v_cndmask_b32_e64 v159, v64, v159, s[40:41]                // 000000025E84: D100009F 00A33F40
	v_mov_b32_e32 v48, v144                                    // 000000025E8C: 7E600390
	v_max3_f32 v48, v144, v145, v48                            // 000000025E90: D1D30030 04C32390
	v_max3_f32 v48, v146, v147, v48                            // 000000025E98: D1D30030 04C32792
	v_max3_f32 v48, v148, v149, v48                            // 000000025EA0: D1D30030 04C32B94
	v_max3_f32 v48, v150, v151, v48                            // 000000025EA8: D1D30030 04C32F96
	v_max3_f32 v48, v152, v153, v48                            // 000000025EB0: D1D30030 04C33398
	v_max3_f32 v48, v154, v155, v48                            // 000000025EB8: D1D30030 04C3379A
	v_max3_f32 v48, v156, v157, v48                            // 000000025EC0: D1D30030 04C33B9C
	v_max3_f32 v48, v158, v159, v48                            // 000000025EC8: D1D30030 04C33F9E
	ds_write_b32 v8, v48 offset:16896                          // 000000025ED0: D81A4200 00003008
	v_mul_f32_e32 v224, v51, v224                              // 000000025ED8: 0BC1C133
	v_mul_f32_e32 v225, v51, v225                              // 000000025EDC: 0BC3C333
	v_mul_f32_e32 v226, v51, v226                              // 000000025EE0: 0BC5C533
	v_mul_f32_e32 v227, v51, v227                              // 000000025EE4: 0BC7C733
	v_mul_f32_e32 v228, v51, v228                              // 000000025EE8: 0BC9C933
	v_mul_f32_e32 v229, v51, v229                              // 000000025EEC: 0BCBCB33
	v_mul_f32_e32 v230, v51, v230                              // 000000025EF0: 0BCDCD33
	v_mul_f32_e32 v231, v51, v231                              // 000000025EF4: 0BCFCF33
	s_waitcnt lgkmcnt(0)                                       // 000000025EF8: BF8CC07F
	s_barrier                                                  // 000000025EFC: BF8A0000
	ds_read_b32 v64, v7 offset:16896                           // 000000025F00: D86C4200 40000007
	ds_read_b32 v65, v7 offset:16960                           // 000000025F08: D86C4240 41000007
	ds_read_b32 v66, v7 offset:17024                           // 000000025F10: D86C4280 42000007
	ds_read_b32 v67, v7 offset:17088                           // 000000025F18: D86C42C0 43000007
	ds_read_b32 v68, v7 offset:17152                           // 000000025F20: D86C4300 44000007
	ds_read_b32 v69, v7 offset:17216                           // 000000025F28: D86C4340 45000007
	ds_read_b32 v70, v7 offset:17280                           // 000000025F30: D86C4380 46000007
	ds_read_b32 v71, v7 offset:17344                           // 000000025F38: D86C43C0 47000007
	ds_read_b32 v72, v7 offset:17408                           // 000000025F40: D86C4400 48000007
	ds_read_b32 v73, v7 offset:17472                           // 000000025F48: D86C4440 49000007
	ds_read_b32 v74, v7 offset:17536                           // 000000025F50: D86C4480 4A000007
	ds_read_b32 v75, v7 offset:17600                           // 000000025F58: D86C44C0 4B000007
	ds_read_b32 v76, v7 offset:17664                           // 000000025F60: D86C4500 4C000007
	ds_read_b32 v77, v7 offset:17728                           // 000000025F68: D86C4540 4D000007
	ds_read_b32 v78, v7 offset:17792                           // 000000025F70: D86C4580 4E000007
	ds_read_b32 v79, v7 offset:17856                           // 000000025F78: D86C45C0 4F000007
	v_mul_f32_e32 v192, v46, v192                              // 000000025F80: 0B81812E
	v_mul_f32_e32 v193, v46, v193                              // 000000025F84: 0B83832E
	v_mul_f32_e32 v194, v46, v194                              // 000000025F88: 0B85852E
	v_mul_f32_e32 v195, v46, v195                              // 000000025F8C: 0B87872E
	v_mul_f32_e32 v196, v46, v196                              // 000000025F90: 0B89892E
	v_mul_f32_e32 v197, v46, v197                              // 000000025F94: 0B8B8B2E
	v_mul_f32_e32 v198, v46, v198                              // 000000025F98: 0B8D8D2E
	v_mul_f32_e32 v199, v46, v199                              // 000000025F9C: 0B8F8F2E
	s_waitcnt lgkmcnt(0)                                       // 000000025FA0: BF8CC07F
	v_max3_f32 v48, v64, v65, v48                              // 000000025FA4: D1D30030 04C28340
	v_max3_f32 v48, v66, v67, v48                              // 000000025FAC: D1D30030 04C28742
	v_max3_f32 v48, v68, v69, v48                              // 000000025FB4: D1D30030 04C28B44
	v_max3_f32 v48, v70, v71, v48                              // 000000025FBC: D1D30030 04C28F46
	v_max3_f32 v48, v72, v73, v48                              // 000000025FC4: D1D30030 04C29348
	v_max3_f32 v48, v74, v75, v48                              // 000000025FCC: D1D30030 04C2974A
	v_max3_f32 v48, v76, v77, v48                              // 000000025FD4: D1D30030 04C29B4C
	v_max3_f32 v48, v78, v79, v48                              // 000000025FDC: D1D30030 04C29F4E
	v_mov_b32_e32 v64, 0xff800000                              // 000000025FE4: 7E8002FF FF800000
	v_cmp_eq_u32_e64 s[40:41], v64, v13                        // 000000025FEC: D0CA0028 00021B40
	s_nop 1                                                    // 000000025FF4: BF800001
	v_max_f32_e32 v15, v48, v13                                // 000000025FF8: 161E1B30
	v_mul_f32_e32 v53, s64, v15                                // 000000025FFC: 0A6A1E40
	v_fma_f32 v144, v144, s64, -v53                            // 000000026000: D1CB0090 84D48190
	v_fma_f32 v145, v145, s64, -v53                            // 000000026008: D1CB0091 84D48191
	v_fma_f32 v146, v146, s64, -v53                            // 000000026010: D1CB0092 84D48192
	v_fma_f32 v147, v147, s64, -v53                            // 000000026018: D1CB0093 84D48193
	v_fma_f32 v148, v148, s64, -v53                            // 000000026020: D1CB0094 84D48194
	v_fma_f32 v149, v149, s64, -v53                            // 000000026028: D1CB0095 84D48195
	v_fma_f32 v150, v150, s64, -v53                            // 000000026030: D1CB0096 84D48196
	v_fma_f32 v151, v151, s64, -v53                            // 000000026038: D1CB0097 84D48197
	v_fma_f32 v152, v152, s64, -v53                            // 000000026040: D1CB0098 84D48198
	v_fma_f32 v153, v153, s64, -v53                            // 000000026048: D1CB0099 84D48199
	v_fma_f32 v154, v154, s64, -v53                            // 000000026050: D1CB009A 84D4819A
	v_fma_f32 v155, v155, s64, -v53                            // 000000026058: D1CB009B 84D4819B
	v_fma_f32 v156, v156, s64, -v53                            // 000000026060: D1CB009C 84D4819C
	v_fma_f32 v157, v157, s64, -v53                            // 000000026068: D1CB009D 84D4819D
	v_fma_f32 v158, v158, s64, -v53                            // 000000026070: D1CB009E 84D4819E
	v_fma_f32 v159, v159, s64, -v53                            // 000000026078: D1CB009F 84D4819F
	v_exp_f32_e32 v144, v144                                   // 000000026080: 7F204190
	v_exp_f32_e32 v145, v145                                   // 000000026084: 7F224191
	v_exp_f32_e32 v146, v146                                   // 000000026088: 7F244192
	v_exp_f32_e32 v147, v147                                   // 00000002608C: 7F264193
	v_exp_f32_e32 v148, v148                                   // 000000026090: 7F284194
	v_exp_f32_e32 v149, v149                                   // 000000026094: 7F2A4195
	v_exp_f32_e32 v150, v150                                   // 000000026098: 7F2C4196
	v_exp_f32_e32 v151, v151                                   // 00000002609C: 7F2E4197
	v_exp_f32_e32 v152, v152                                   // 0000000260A0: 7F304198
	v_exp_f32_e32 v153, v153                                   // 0000000260A4: 7F324199
	v_exp_f32_e32 v154, v154                                   // 0000000260A8: 7F34419A
	v_exp_f32_e32 v155, v155                                   // 0000000260AC: 7F36419B
	v_exp_f32_e32 v156, v156                                   // 0000000260B0: 7F38419C
	v_exp_f32_e32 v157, v157                                   // 0000000260B4: 7F3A419D
	v_exp_f32_e32 v158, v158                                   // 0000000260B8: 7F3C419E
	v_exp_f32_e32 v159, v159                                   // 0000000260BC: 7F3E419F
	v_mul_f32_dpp v240, v252, v144 quad_perm:[0,0,0,0] row_mask:0xf bank_mask:0xf// 0000000260C0: 0BE120FA FF0000FC
	v_mul_f32_dpp v241, v252, v145 quad_perm:[1,1,1,1] row_mask:0xf bank_mask:0xf// 0000000260C8: 0BE322FA FF0055FC
	v_mul_f32_dpp v242, v252, v146 quad_perm:[2,2,2,2] row_mask:0xf bank_mask:0xf// 0000000260D0: 0BE524FA FF00AAFC
	v_mul_f32_dpp v243, v252, v147 quad_perm:[3,3,3,3] row_mask:0xf bank_mask:0xf// 0000000260D8: 0BE726FA FF00FFFC
	v_mul_f32_dpp v244, v253, v148 quad_perm:[0,0,0,0] row_mask:0xf bank_mask:0xf// 0000000260E0: 0BE928FA FF0000FD
	v_mul_f32_dpp v245, v253, v149 quad_perm:[1,1,1,1] row_mask:0xf bank_mask:0xf// 0000000260E8: 0BEB2AFA FF0055FD
	v_mul_f32_dpp v246, v253, v150 quad_perm:[2,2,2,2] row_mask:0xf bank_mask:0xf// 0000000260F0: 0BED2CFA FF00AAFD
	v_mul_f32_dpp v247, v253, v151 quad_perm:[3,3,3,3] row_mask:0xf bank_mask:0xf// 0000000260F8: 0BEF2EFA FF00FFFD
	v_mul_f32_dpp v248, v254, v152 quad_perm:[0,0,0,0] row_mask:0xf bank_mask:0xf// 000000026100: 0BF130FA FF0000FE
	v_mul_f32_dpp v249, v254, v153 quad_perm:[1,1,1,1] row_mask:0xf bank_mask:0xf// 000000026108: 0BF332FA FF0055FE
	v_mul_f32_dpp v250, v254, v154 quad_perm:[2,2,2,2] row_mask:0xf bank_mask:0xf// 000000026110: 0BF534FA FF00AAFE
	v_mul_f32_dpp v251, v254, v155 quad_perm:[3,3,3,3] row_mask:0xf bank_mask:0xf// 000000026118: 0BF736FA FF00FFFE
	v_mul_f32_dpp v252, v255, v156 quad_perm:[0,0,0,0] row_mask:0xf bank_mask:0xf// 000000026120: 0BF938FA FF0000FF
	v_mul_f32_dpp v253, v255, v157 quad_perm:[1,1,1,1] row_mask:0xf bank_mask:0xf// 000000026128: 0BFB3AFA FF0055FF
	v_mul_f32_dpp v254, v255, v158 quad_perm:[2,2,2,2] row_mask:0xf bank_mask:0xf// 000000026130: 0BFD3CFA FF00AAFF
	v_mul_f32_dpp v255, v255, v159 quad_perm:[3,3,3,3] row_mask:0xf bank_mask:0xf// 000000026138: 0BFF3EFA FF00FFFF
	v_mov_b32_e32 v48, 0x358637bd                              // 000000026140: 7E6002FF 358637BD
	v_max3_f32 v48, |v240|, |v241|, v48                        // 000000026148: D1D30330 04C3E3F0
	v_max3_f32 v48, |v242|, |v243|, v48                        // 000000026150: D1D30330 04C3E7F2
	v_max3_f32 v48, |v244|, |v245|, v48                        // 000000026158: D1D30330 04C3EBF4
	v_max3_f32 v48, |v246|, |v247|, v48                        // 000000026160: D1D30330 04C3EFF6
	v_max3_f32 v48, |v248|, |v249|, v48                        // 000000026168: D1D30330 04C3F3F8
	v_max3_f32 v48, |v250|, |v251|, v48                        // 000000026170: D1D30330 04C3F7FA
	v_max3_f32 v48, |v252|, |v253|, v48                        // 000000026178: D1D30330 04C3FBFC
	v_max3_f32 v48, |v254|, |v255|, v48                        // 000000026180: D1D30330 04C3FFFE
	ds_write_b32 v8, v48 offset:20992                          // 000000026188: D81A5200 00003008
	v_sub_f32_e32 v51, v13, v15                                // 000000026190: 04661F0D
	v_cndmask_b32_e64 v51, v51, 0, s[40:41]                    // 000000026194: D1000033 00A10133
	v_mov_b32_e32 v13, v15                                     // 00000002619C: 7E1A030F
	v_mul_f32_e32 v51, s64, v51                                // 0000000261A0: 0A666640
	v_exp_f32_e32 v51, v51                                     // 0000000261A4: 7E664133
	s_waitcnt lgkmcnt(0)                                       // 0000000261A8: BF8CC07F
	s_barrier                                                  // 0000000261AC: BF8A0000
	ds_read_b32 v64, v7 offset:20992                           // 0000000261B0: D86C5200 40000007
	ds_read_b32 v65, v7 offset:21056                           // 0000000261B8: D86C5240 41000007
	ds_read_b32 v66, v7 offset:21120                           // 0000000261C0: D86C5280 42000007
	ds_read_b32 v67, v7 offset:21184                           // 0000000261C8: D86C52C0 43000007
	ds_read_b32 v68, v7 offset:21248                           // 0000000261D0: D86C5300 44000007
	ds_read_b32 v69, v7 offset:21312                           // 0000000261D8: D86C5340 45000007
	ds_read_b32 v70, v7 offset:21376                           // 0000000261E0: D86C5380 46000007
	ds_read_b32 v71, v7 offset:21440                           // 0000000261E8: D86C53C0 47000007
	ds_read_b32 v72, v7 offset:21504                           // 0000000261F0: D86C5400 48000007
	ds_read_b32 v73, v7 offset:21568                           // 0000000261F8: D86C5440 49000007
	ds_read_b32 v74, v7 offset:21632                           // 000000026200: D86C5480 4A000007
	ds_read_b32 v75, v7 offset:21696                           // 000000026208: D86C54C0 4B000007
	ds_read_b32 v76, v7 offset:21760                           // 000000026210: D86C5500 4C000007
	ds_read_b32 v77, v7 offset:21824                           // 000000026218: D86C5540 4D000007
	ds_read_b32 v78, v7 offset:21888                           // 000000026220: D86C5580 4E000007
	ds_read_b32 v79, v7 offset:21952                           // 000000026228: D86C55C0 4F000007
	v_mul_f32_e32 v40, v51, v40                                // 000000026230: 0A505133
	v_mov_b32_e32 v15, v144                                    // 000000026234: 7E1E0390
	v_add_f32_e32 v15, v145, v15                               // 000000026238: 021E1F91
	v_add_f32_e32 v15, v146, v15                               // 00000002623C: 021E1F92
	v_add_f32_e32 v15, v147, v15                               // 000000026240: 021E1F93
	v_add_f32_e32 v15, v148, v15                               // 000000026244: 021E1F94
	v_add_f32_e32 v15, v149, v15                               // 000000026248: 021E1F95
	v_add_f32_e32 v15, v150, v15                               // 00000002624C: 021E1F96
	v_add_f32_e32 v15, v151, v15                               // 000000026250: 021E1F97
	v_add_f32_e32 v15, v152, v15                               // 000000026254: 021E1F98
	v_add_f32_e32 v15, v153, v15                               // 000000026258: 021E1F99
	v_add_f32_e32 v15, v154, v15                               // 00000002625C: 021E1F9A
	v_add_f32_e32 v15, v155, v15                               // 000000026260: 021E1F9B
	v_add_f32_e32 v15, v156, v15                               // 000000026264: 021E1F9C
	v_add_f32_e32 v15, v157, v15                               // 000000026268: 021E1F9D
	v_add_f32_e32 v15, v158, v15                               // 00000002626C: 021E1F9E
	v_add_f32_e32 v15, v159, v15                               // 000000026270: 021E1F9F
	v_add_f32_e32 v40, v15, v40                                // 000000026274: 0250510F
	s_waitcnt lgkmcnt(0)                                       // 000000026278: BF8CC07F
	v_max3_f32 v48, |v64|, |v65|, v48                          // 00000002627C: D1D30330 04C28340
	v_max3_f32 v48, |v66|, |v67|, v48                          // 000000026284: D1D30330 04C28742
	v_max3_f32 v48, |v68|, |v69|, v48                          // 00000002628C: D1D30330 04C28B44
	v_max3_f32 v48, |v70|, |v71|, v48                          // 000000026294: D1D30330 04C28F46
	v_max3_f32 v48, |v72|, |v73|, v48                          // 00000002629C: D1D30330 04C29348
	v_max3_f32 v48, |v74|, |v75|, v48                          // 0000000262A4: D1D30330 04C2974A
	v_max3_f32 v48, |v76|, |v77|, v48                          // 0000000262AC: D1D30330 04C29B4C
	v_max3_f32 v48, |v78|, |v79|, v48                          // 0000000262B4: D1D30330 04C29F4E
	s_nop 2                                                    // 0000000262BC: BF800002
	v_rcp_f32_e32 v48, v48                                     // 0000000262C0: 7E604530
	s_nop 1                                                    // 0000000262C4: BF800001
	v_mul_f32_e32 v48, 0x43e00000, v48                         // 0000000262C8: 0A6060FF 43E00000
	v_mul_f32_e32 v144, v48, v240                              // 0000000262D0: 0B21E130
	v_mul_f32_e32 v145, v48, v241                              // 0000000262D4: 0B23E330
	v_mul_f32_e32 v146, v48, v242                              // 0000000262D8: 0B25E530
	v_mul_f32_e32 v147, v48, v243                              // 0000000262DC: 0B27E730
	v_mul_f32_e32 v148, v48, v244                              // 0000000262E0: 0B29E930
	v_mul_f32_e32 v149, v48, v245                              // 0000000262E4: 0B2BEB30
	v_mul_f32_e32 v150, v48, v246                              // 0000000262E8: 0B2DED30
	v_mul_f32_e32 v151, v48, v247                              // 0000000262EC: 0B2FEF30
	v_mul_f32_e32 v152, v48, v248                              // 0000000262F0: 0B31F130
	v_mul_f32_e32 v153, v48, v249                              // 0000000262F4: 0B33F330
	v_mul_f32_e32 v154, v48, v250                              // 0000000262F8: 0B35F530
	v_mul_f32_e32 v155, v48, v251                              // 0000000262FC: 0B37F730
	v_mul_f32_e32 v156, v48, v252                              // 000000026300: 0B39F930
	v_mul_f32_e32 v157, v48, v253                              // 000000026304: 0B3BFB30
	v_mul_f32_e32 v158, v48, v254                              // 000000026308: 0B3DFD30
	v_mul_f32_e32 v159, v48, v255                              // 00000002630C: 0B3FFF30
	v_cvt_pk_fp8_f32 v144, v144, v145                          // 000000026310: D2A20090 00032390
	v_cvt_pk_fp8_f32 v144, v146, v147 op_sel:[0,0,1]           // 000000026318: D2A24090 00032792
	v_cvt_pk_fp8_f32 v145, v148, v149                          // 000000026320: D2A20091 00032B94
	v_cvt_pk_fp8_f32 v145, v150, v151 op_sel:[0,0,1]           // 000000026328: D2A24091 00032F96
	v_cvt_pk_fp8_f32 v146, v152, v153                          // 000000026330: D2A20092 00033398
	v_cvt_pk_fp8_f32 v146, v154, v155 op_sel:[0,0,1]           // 000000026338: D2A24092 0003379A
	v_cvt_pk_fp8_f32 v147, v156, v157                          // 000000026340: D2A20093 00033B9C
	v_cvt_pk_fp8_f32 v147, v158, v159 op_sel:[0,0,1]           // 000000026348: D2A24093 00033F9E
	ds_write_b32 v10, v144 offset:33280                        // 000000026350: D81A8200 0000900A
	ds_write_b32 v10, v145 offset:34304                        // 000000026358: D81A8600 0000910A
	ds_write_b32 v10, v146 offset:35328                        // 000000026360: D81A8A00 0000920A
	ds_write_b32 v10, v147 offset:36352                        // 000000026368: D81A8E00 0000930A
	v_add_f32_e32 v224, v224, v192                             // 000000026370: 03C181E0
	v_add_f32_e32 v225, v225, v193                             // 000000026374: 03C383E1
	v_add_f32_e32 v226, v226, v194                             // 000000026378: 03C585E2
	v_add_f32_e32 v227, v227, v195                             // 00000002637C: 03C787E3
	v_add_f32_e32 v228, v228, v196                             // 000000026380: 03C989E4
	v_add_f32_e32 v229, v229, v197                             // 000000026384: 03CB8BE5
	v_add_f32_e32 v230, v230, v198                             // 000000026388: 03CD8DE6
	v_add_f32_e32 v231, v231, v199                             // 00000002638C: 03CF8FE7
	v_rcp_f32_e32 v46, v48                                     // 000000026390: 7E5C4530
	s_waitcnt lgkmcnt(0)                                       // 000000026394: BF8CC07F
	s_barrier                                                  // 000000026398: BF8A0000
	ds_read_b64 v[144:145], v9 offset:33280                    // 00000002639C: D8EC8200 90000009
	ds_read_b64 v[146:147], v9 offset:33408                    // 0000000263A4: D8EC8280 92000009
	ds_read_b64 v[148:149], v9 offset:34304                    // 0000000263AC: D8EC8600 94000009
	ds_read_b64 v[150:151], v9 offset:34432                    // 0000000263B4: D8EC8680 96000009
	ds_read_b64 v[152:153], v9 offset:35328                    // 0000000263BC: D8EC8A00 98000009
	ds_read_b64 v[154:155], v9 offset:35456                    // 0000000263C4: D8EC8A80 9A000009
	ds_read_b64 v[156:157], v9 offset:36352                    // 0000000263CC: D8EC8E00 9C000009
	ds_read_b64 v[158:159], v9 offset:36480                    // 0000000263D4: D8EC8E80 9E000009
	v_mov_b32_dpp v64, v43 row_shr:4 row_mask:0xf bank_mask:0xf// 0000000263DC: 7E8002FA FF01142B
	v_mov_b32_dpp v65, v43 row_shl:4 row_mask:0xf bank_mask:0xf// 0000000263E4: 7E8202FA FF01042B
	v_cndmask_b32_e64 v248, v43, v64, s[44:45]                 // 0000000263EC: D10000F8 00B2812B
	v_cndmask_b32_e64 v249, v65, v43, s[44:45]                 // 0000000263F4: D10000F9 00B25741
	v_mov_b32_dpp v64, v248 row_shr:8 row_mask:0xf bank_mask:0xf// 0000000263FC: 7E8002FA FF0118F8
	v_mov_b32_dpp v65, v248 row_shl:8 row_mask:0xf bank_mask:0xf// 000000026404: 7E8202FA FF0108F8
	v_mov_b32_dpp v66, v249 row_shr:8 row_mask:0xf bank_mask:0xf// 00000002640C: 7E8402FA FF0118F9
	v_mov_b32_dpp v67, v249 row_shl:8 row_mask:0xf bank_mask:0xf// 000000026414: 7E8602FA FF0108F9
	v_mov_b32_e32 v68, v248                                    // 00000002641C: 7E8803F8
	v_mov_b32_e32 v69, v249                                    // 000000026420: 7E8A03F9
	v_cndmask_b32_e64 v248, v68, v64, s[42:43]                 // 000000026424: D10000F8 00AA8144
	v_cndmask_b32_e64 v250, v68, v65, s[78:79]                 // 00000002642C: D10000FA 013A8344
	v_cndmask_b32_e64 v249, v69, v66, s[42:43]                 // 000000026434: D10000F9 00AA8545
	v_cndmask_b32_e64 v251, v69, v67, s[78:79]                 // 00000002643C: D10000FB 013A8745
	v_mov_b32_dpp v64, v58 row_shr:4 row_mask:0xf bank_mask:0xf// 000000026444: 7E8002FA FF01143A
	v_mov_b32_dpp v65, v58 row_shl:4 row_mask:0xf bank_mask:0xf// 00000002644C: 7E8202FA FF01043A
	v_cndmask_b32_e64 v252, v58, v64, s[44:45]                 // 000000026454: D10000FC 00B2813A
	v_cndmask_b32_e64 v253, v65, v58, s[44:45]                 // 00000002645C: D10000FD 00B27541
	v_mov_b32_dpp v64, v252 row_shr:8 row_mask:0xf bank_mask:0xf// 000000026464: 7E8002FA FF0118FC
	v_mov_b32_dpp v65, v252 row_shl:8 row_mask:0xf bank_mask:0xf// 00000002646C: 7E8202FA FF0108FC
	v_mov_b32_dpp v66, v253 row_shr:8 row_mask:0xf bank_mask:0xf// 000000026474: 7E8402FA FF0118FD
	v_mov_b32_dpp v67, v253 row_shl:8 row_mask:0xf bank_mask:0xf// 00000002647C: 7E8602FA FF0108FD
	v_mov_b32_e32 v68, v252                                    // 000000026484: 7E8803FC
	v_mov_b32_e32 v69, v253                                    // 000000026488: 7E8A03FD
	v_cndmask_b32_e64 v252, v68, v64, s[42:43]                 // 00000002648C: D10000FC 00AA8144
	v_cndmask_b32_e64 v254, v68, v65, s[78:79]                 // 000000026494: D10000FE 013A8344
	v_cndmask_b32_e64 v253, v69, v66, s[42:43]                 // 00000002649C: D10000FD 00AA8545
	v_cndmask_b32_e64 v255, v69, v67, s[78:79]                 // 0000000264A4: D10000FF 013A8745
	v_mul_f32_e32 v160, v21, v160                              // 0000000264AC: 0B414115
	v_mul_f32_e32 v161, v21, v161                              // 0000000264B0: 0B434315
	v_mul_f32_e32 v162, v21, v162                              // 0000000264B4: 0B454515
	v_mul_f32_e32 v163, v21, v163                              // 0000000264B8: 0B474715
	v_mul_f32_e32 v164, v21, v164                              // 0000000264BC: 0B494915
	v_mul_f32_e32 v165, v21, v165                              // 0000000264C0: 0B4B4B15
	v_mul_f32_e32 v166, v21, v166                              // 0000000264C4: 0B4D4D15
	v_mul_f32_e32 v167, v21, v167                              // 0000000264C8: 0B4F4F15
	v_mul_f32_e32 v168, v21, v168                              // 0000000264CC: 0B515115
	v_mul_f32_e32 v169, v21, v169                              // 0000000264D0: 0B535315
	v_mul_f32_e32 v170, v21, v170                              // 0000000264D4: 0B555515
	v_mul_f32_e32 v171, v21, v171                              // 0000000264D8: 0B575715
	v_mul_f32_e32 v172, v21, v172                              // 0000000264DC: 0B595915
	v_mul_f32_e32 v173, v21, v173                              // 0000000264E0: 0B5B5B15
	v_mul_f32_e32 v174, v21, v174                              // 0000000264E4: 0B5D5D15
	v_mul_f32_e32 v175, v21, v175                              // 0000000264E8: 0B5F5F15
	v_mul_f32_dpp v160, v248, v160 quad_perm:[0,0,0,0] row_mask:0xf bank_mask:0xf// 0000000264EC: 0B4140FA FF0000F8
	v_mul_f32_dpp v161, v248, v161 quad_perm:[1,1,1,1] row_mask:0xf bank_mask:0xf// 0000000264F4: 0B4342FA FF0055F8
	v_mul_f32_dpp v162, v248, v162 quad_perm:[2,2,2,2] row_mask:0xf bank_mask:0xf// 0000000264FC: 0B4544FA FF00AAF8
	v_mul_f32_dpp v163, v248, v163 quad_perm:[3,3,3,3] row_mask:0xf bank_mask:0xf// 000000026504: 0B4746FA FF00FFF8
	v_mul_f32_dpp v164, v249, v164 quad_perm:[0,0,0,0] row_mask:0xf bank_mask:0xf// 00000002650C: 0B4948FA FF0000F9
	v_mul_f32_dpp v165, v249, v165 quad_perm:[1,1,1,1] row_mask:0xf bank_mask:0xf// 000000026514: 0B4B4AFA FF0055F9
	v_mul_f32_dpp v166, v249, v166 quad_perm:[2,2,2,2] row_mask:0xf bank_mask:0xf// 00000002651C: 0B4D4CFA FF00AAF9
	v_mul_f32_dpp v167, v249, v167 quad_perm:[3,3,3,3] row_mask:0xf bank_mask:0xf// 000000026524: 0B4F4EFA FF00FFF9
	v_mul_f32_dpp v168, v250, v168 quad_perm:[0,0,0,0] row_mask:0xf bank_mask:0xf// 00000002652C: 0B5150FA FF0000FA
	v_mul_f32_dpp v169, v250, v169 quad_perm:[1,1,1,1] row_mask:0xf bank_mask:0xf// 000000026534: 0B5352FA FF0055FA
	v_mul_f32_dpp v170, v250, v170 quad_perm:[2,2,2,2] row_mask:0xf bank_mask:0xf// 00000002653C: 0B5554FA FF00AAFA
	v_mul_f32_dpp v171, v250, v171 quad_perm:[3,3,3,3] row_mask:0xf bank_mask:0xf// 000000026544: 0B5756FA FF00FFFA
	v_mul_f32_dpp v172, v251, v172 quad_perm:[0,0,0,0] row_mask:0xf bank_mask:0xf// 00000002654C: 0B5958FA FF0000FB
	v_mul_f32_dpp v173, v251, v173 quad_perm:[1,1,1,1] row_mask:0xf bank_mask:0xf// 000000026554: 0B5B5AFA FF0055FB
	v_mul_f32_dpp v174, v251, v174 quad_perm:[2,2,2,2] row_mask:0xf bank_mask:0xf// 00000002655C: 0B5D5CFA FF00AAFB
	v_mul_f32_dpp v175, v251, v175 quad_perm:[3,3,3,3] row_mask:0xf bank_mask:0xf// 000000026564: 0B5F5EFA FF00FFFB
	s_and_b32 s60, s72, 0xff                                   // 00000002656C: 863CFF48 000000FF
	v_mov_b32_e32 v65, s60                                     // 000000026574: 7E82023C
	v_lshrrev_b32_e32 v240, 4, v0                              // 000000026578: 21E00084
	v_mul_i32_i24_e32 v240, 4, v240                            // 00000002657C: 0DE1E084
	s_mul_i32 s60, s7, 16                                      // 000000026580: 923C9007
	v_add_u32_e32 v240, s60, v240                              // 000000026584: 69E1E03C
	v_add_u32_e32 v241, 1, v240                                // 000000026588: 69E3E081
	v_add_u32_e32 v242, 2, v240                                // 00000002658C: 69E5E082
	v_add_u32_e32 v243, 3, v240                                // 000000026590: 69E7E083
	v_mov_b32_e32 v64, 0xff800000                              // 000000026594: 7E8002FF FF800000
	v_cmp_lt_u32_e64 s[40:41], v240, v65                       // 00000002659C: D0C90028 000283F0
	v_add_u32_e32 v240, 64, v240                               // 0000000265A4: 69E1E0C0
	s_nop 0                                                    // 0000000265A8: BF800000
	v_cndmask_b32_e64 v160, v64, v160, s[40:41]                // 0000000265AC: D10000A0 00A34140
	v_cmp_lt_u32_e64 s[40:41], v241, v65                       // 0000000265B4: D0C90028 000283F1
	v_add_u32_e32 v241, 64, v241                               // 0000000265BC: 69E3E2C0
	s_nop 0                                                    // 0000000265C0: BF800000
	v_cndmask_b32_e64 v161, v64, v161, s[40:41]                // 0000000265C4: D10000A1 00A34340
	v_cmp_lt_u32_e64 s[40:41], v242, v65                       // 0000000265CC: D0C90028 000283F2
	v_add_u32_e32 v242, 64, v242                               // 0000000265D4: 69E5E4C0
	s_nop 0                                                    // 0000000265D8: BF800000
	v_cndmask_b32_e64 v162, v64, v162, s[40:41]                // 0000000265DC: D10000A2 00A34540
	v_cmp_lt_u32_e64 s[40:41], v243, v65                       // 0000000265E4: D0C90028 000283F3
	v_add_u32_e32 v243, 64, v243                               // 0000000265EC: 69E7E6C0
	s_nop 0                                                    // 0000000265F0: BF800000
	v_cndmask_b32_e64 v163, v64, v163, s[40:41]                // 0000000265F4: D10000A3 00A34740
	v_cmp_lt_u32_e64 s[40:41], v240, v65                       // 0000000265FC: D0C90028 000283F0
	v_add_u32_e32 v240, 64, v240                               // 000000026604: 69E1E0C0
	s_nop 0                                                    // 000000026608: BF800000
	v_cndmask_b32_e64 v164, v64, v164, s[40:41]                // 00000002660C: D10000A4 00A34940
	v_cmp_lt_u32_e64 s[40:41], v241, v65                       // 000000026614: D0C90028 000283F1
	v_add_u32_e32 v241, 64, v241                               // 00000002661C: 69E3E2C0
	s_nop 0                                                    // 000000026620: BF800000
	v_cndmask_b32_e64 v165, v64, v165, s[40:41]                // 000000026624: D10000A5 00A34B40
	v_cmp_lt_u32_e64 s[40:41], v242, v65                       // 00000002662C: D0C90028 000283F2
	v_add_u32_e32 v242, 64, v242                               // 000000026634: 69E5E4C0
	s_nop 0                                                    // 000000026638: BF800000
	v_cndmask_b32_e64 v166, v64, v166, s[40:41]                // 00000002663C: D10000A6 00A34D40
	v_cmp_lt_u32_e64 s[40:41], v243, v65                       // 000000026644: D0C90028 000283F3
	v_add_u32_e32 v243, 64, v243                               // 00000002664C: 69E7E6C0
	s_nop 0                                                    // 000000026650: BF800000
	v_cndmask_b32_e64 v167, v64, v167, s[40:41]                // 000000026654: D10000A7 00A34F40
	v_cmp_lt_u32_e64 s[40:41], v240, v65                       // 00000002665C: D0C90028 000283F0
	v_add_u32_e32 v240, 64, v240                               // 000000026664: 69E1E0C0
	s_nop 0                                                    // 000000026668: BF800000
	v_cndmask_b32_e64 v168, v64, v168, s[40:41]                // 00000002666C: D10000A8 00A35140
	v_cmp_lt_u32_e64 s[40:41], v241, v65                       // 000000026674: D0C90028 000283F1
	v_add_u32_e32 v241, 64, v241                               // 00000002667C: 69E3E2C0
	s_nop 0                                                    // 000000026680: BF800000
	v_cndmask_b32_e64 v169, v64, v169, s[40:41]                // 000000026684: D10000A9 00A35340
	v_cmp_lt_u32_e64 s[40:41], v242, v65                       // 00000002668C: D0C90028 000283F2
	v_add_u32_e32 v242, 64, v242                               // 000000026694: 69E5E4C0
	s_nop 0                                                    // 000000026698: BF800000
	v_cndmask_b32_e64 v170, v64, v170, s[40:41]                // 00000002669C: D10000AA 00A35540
	v_cmp_lt_u32_e64 s[40:41], v243, v65                       // 0000000266A4: D0C90028 000283F3
	v_add_u32_e32 v243, 64, v243                               // 0000000266AC: 69E7E6C0
	s_nop 0                                                    // 0000000266B0: BF800000
	v_cndmask_b32_e64 v171, v64, v171, s[40:41]                // 0000000266B4: D10000AB 00A35740
	v_cmp_lt_u32_e64 s[40:41], v240, v65                       // 0000000266BC: D0C90028 000283F0
	v_add_u32_e32 v240, 64, v240                               // 0000000266C4: 69E1E0C0
	s_nop 0                                                    // 0000000266C8: BF800000
	v_cndmask_b32_e64 v172, v64, v172, s[40:41]                // 0000000266CC: D10000AC 00A35940
	v_cmp_lt_u32_e64 s[40:41], v241, v65                       // 0000000266D4: D0C90028 000283F1
	v_add_u32_e32 v241, 64, v241                               // 0000000266DC: 69E3E2C0
	s_nop 0                                                    // 0000000266E0: BF800000
	v_cndmask_b32_e64 v173, v64, v173, s[40:41]                // 0000000266E4: D10000AD 00A35B40
	v_cmp_lt_u32_e64 s[40:41], v242, v65                       // 0000000266EC: D0C90028 000283F2
	v_add_u32_e32 v242, 64, v242                               // 0000000266F4: 69E5E4C0
	s_nop 0                                                    // 0000000266F8: BF800000
	v_cndmask_b32_e64 v174, v64, v174, s[40:41]                // 0000000266FC: D10000AE 00A35D40
	v_cmp_lt_u32_e64 s[40:41], v243, v65                       // 000000026704: D0C90028 000283F3
	v_add_u32_e32 v243, 64, v243                               // 00000002670C: 69E7E6C0
	s_nop 0                                                    // 000000026710: BF800000
	v_cndmask_b32_e64 v175, v64, v175, s[40:41]                // 000000026714: D10000AF 00A35F40
	v_mov_b32_e32 v48, v160                                    // 00000002671C: 7E6003A0
	v_max3_f32 v48, v160, v161, v48                            // 000000026720: D1D30030 04C343A0
	v_max3_f32 v48, v162, v163, v48                            // 000000026728: D1D30030 04C347A2
	v_max3_f32 v48, v164, v165, v48                            // 000000026730: D1D30030 04C34BA4
	v_max3_f32 v48, v166, v167, v48                            // 000000026738: D1D30030 04C34FA6
	v_max3_f32 v48, v168, v169, v48                            // 000000026740: D1D30030 04C353A8
	v_max3_f32 v48, v170, v171, v48                            // 000000026748: D1D30030 04C357AA
	v_max3_f32 v48, v172, v173, v48                            // 000000026750: D1D30030 04C35BAC
	v_max3_f32 v48, v174, v175, v48                            // 000000026758: D1D30030 04C35FAE
	ds_write_b32 v8, v48 offset:16896                          // 000000026760: D81A4200 00003008
	v_mul_f32_e32 v232, v52, v232                              // 000000026768: 0BD1D134
	v_mul_f32_e32 v233, v52, v233                              // 00000002676C: 0BD3D334
	v_mul_f32_e32 v234, v52, v234                              // 000000026770: 0BD5D534
	v_mul_f32_e32 v235, v52, v235                              // 000000026774: 0BD7D734
	v_mul_f32_e32 v236, v52, v236                              // 000000026778: 0BD9D934
	v_mul_f32_e32 v237, v52, v237                              // 00000002677C: 0BDBDB34
	v_mul_f32_e32 v238, v52, v238                              // 000000026780: 0BDDDD34
	v_mul_f32_e32 v239, v52, v239                              // 000000026784: 0BDFDF34
	s_waitcnt lgkmcnt(0)                                       // 000000026788: BF8CC07F
	s_barrier                                                  // 00000002678C: BF8A0000
	ds_read_b32 v64, v7 offset:16896                           // 000000026790: D86C4200 40000007
	ds_read_b32 v65, v7 offset:16960                           // 000000026798: D86C4240 41000007
	ds_read_b32 v66, v7 offset:17024                           // 0000000267A0: D86C4280 42000007
	ds_read_b32 v67, v7 offset:17088                           // 0000000267A8: D86C42C0 43000007
	ds_read_b32 v68, v7 offset:17152                           // 0000000267B0: D86C4300 44000007
	ds_read_b32 v69, v7 offset:17216                           // 0000000267B8: D86C4340 45000007
	ds_read_b32 v70, v7 offset:17280                           // 0000000267C0: D86C4380 46000007
	ds_read_b32 v71, v7 offset:17344                           // 0000000267C8: D86C43C0 47000007
	ds_read_b32 v72, v7 offset:17408                           // 0000000267D0: D86C4400 48000007
	ds_read_b32 v73, v7 offset:17472                           // 0000000267D8: D86C4440 49000007
	ds_read_b32 v74, v7 offset:17536                           // 0000000267E0: D86C4480 4A000007
	ds_read_b32 v75, v7 offset:17600                           // 0000000267E8: D86C44C0 4B000007
	ds_read_b32 v76, v7 offset:17664                           // 0000000267F0: D86C4500 4C000007
	ds_read_b32 v77, v7 offset:17728                           // 0000000267F8: D86C4540 4D000007
	ds_read_b32 v78, v7 offset:17792                           // 000000026800: D86C4580 4E000007
	ds_read_b32 v79, v7 offset:17856                           // 000000026808: D86C45C0 4F000007
	v_mul_f32_e32 v200, v47, v200                              // 000000026810: 0B91912F
	v_mul_f32_e32 v201, v47, v201                              // 000000026814: 0B93932F
	v_mul_f32_e32 v202, v47, v202                              // 000000026818: 0B95952F
	v_mul_f32_e32 v203, v47, v203                              // 00000002681C: 0B97972F
	v_mul_f32_e32 v204, v47, v204                              // 000000026820: 0B99992F
	v_mul_f32_e32 v205, v47, v205                              // 000000026824: 0B9B9B2F
	v_mul_f32_e32 v206, v47, v206                              // 000000026828: 0B9D9D2F
	v_mul_f32_e32 v207, v47, v207                              // 00000002682C: 0B9F9F2F
	s_waitcnt lgkmcnt(0)                                       // 000000026830: BF8CC07F
	v_max3_f32 v48, v64, v65, v48                              // 000000026834: D1D30030 04C28340
	v_max3_f32 v48, v66, v67, v48                              // 00000002683C: D1D30030 04C28742
	v_max3_f32 v48, v68, v69, v48                              // 000000026844: D1D30030 04C28B44
	v_max3_f32 v48, v70, v71, v48                              // 00000002684C: D1D30030 04C28F46
	v_max3_f32 v48, v72, v73, v48                              // 000000026854: D1D30030 04C29348
	v_max3_f32 v48, v74, v75, v48                              // 00000002685C: D1D30030 04C2974A
	v_max3_f32 v48, v76, v77, v48                              // 000000026864: D1D30030 04C29B4C
	v_max3_f32 v48, v78, v79, v48                              // 00000002686C: D1D30030 04C29F4E
	v_mov_b32_e32 v64, 0xff800000                              // 000000026874: 7E8002FF FF800000
	v_cmp_eq_u32_e64 s[40:41], v64, v14                        // 00000002687C: D0CA0028 00021D40
	s_nop 1                                                    // 000000026884: BF800001
	v_max_f32_e32 v15, v48, v14                                // 000000026888: 161E1D30
	v_mul_f32_e32 v53, s64, v15                                // 00000002688C: 0A6A1E40
	v_fma_f32 v160, v160, s64, -v53                            // 000000026890: D1CB00A0 84D481A0
	v_fma_f32 v161, v161, s64, -v53                            // 000000026898: D1CB00A1 84D481A1
	v_fma_f32 v162, v162, s64, -v53                            // 0000000268A0: D1CB00A2 84D481A2
	v_fma_f32 v163, v163, s64, -v53                            // 0000000268A8: D1CB00A3 84D481A3
	v_fma_f32 v164, v164, s64, -v53                            // 0000000268B0: D1CB00A4 84D481A4
	v_fma_f32 v165, v165, s64, -v53                            // 0000000268B8: D1CB00A5 84D481A5
	v_fma_f32 v166, v166, s64, -v53                            // 0000000268C0: D1CB00A6 84D481A6
	v_fma_f32 v167, v167, s64, -v53                            // 0000000268C8: D1CB00A7 84D481A7
	v_fma_f32 v168, v168, s64, -v53                            // 0000000268D0: D1CB00A8 84D481A8
	v_fma_f32 v169, v169, s64, -v53                            // 0000000268D8: D1CB00A9 84D481A9
	v_fma_f32 v170, v170, s64, -v53                            // 0000000268E0: D1CB00AA 84D481AA
	v_fma_f32 v171, v171, s64, -v53                            // 0000000268E8: D1CB00AB 84D481AB
	v_fma_f32 v172, v172, s64, -v53                            // 0000000268F0: D1CB00AC 84D481AC
	v_fma_f32 v173, v173, s64, -v53                            // 0000000268F8: D1CB00AD 84D481AD
	v_fma_f32 v174, v174, s64, -v53                            // 000000026900: D1CB00AE 84D481AE
	v_fma_f32 v175, v175, s64, -v53                            // 000000026908: D1CB00AF 84D481AF
	v_exp_f32_e32 v160, v160                                   // 000000026910: 7F4041A0
	v_exp_f32_e32 v161, v161                                   // 000000026914: 7F4241A1
	v_exp_f32_e32 v162, v162                                   // 000000026918: 7F4441A2
	v_exp_f32_e32 v163, v163                                   // 00000002691C: 7F4641A3
	v_exp_f32_e32 v164, v164                                   // 000000026920: 7F4841A4
	v_exp_f32_e32 v165, v165                                   // 000000026924: 7F4A41A5
	v_exp_f32_e32 v166, v166                                   // 000000026928: 7F4C41A6
	v_exp_f32_e32 v167, v167                                   // 00000002692C: 7F4E41A7
	v_exp_f32_e32 v168, v168                                   // 000000026930: 7F5041A8
	v_exp_f32_e32 v169, v169                                   // 000000026934: 7F5241A9
	v_exp_f32_e32 v170, v170                                   // 000000026938: 7F5441AA
	v_exp_f32_e32 v171, v171                                   // 00000002693C: 7F5641AB
	v_exp_f32_e32 v172, v172                                   // 000000026940: 7F5841AC
	v_exp_f32_e32 v173, v173                                   // 000000026944: 7F5A41AD
	v_exp_f32_e32 v174, v174                                   // 000000026948: 7F5C41AE
	v_exp_f32_e32 v175, v175                                   // 00000002694C: 7F5E41AF
	v_mul_f32_dpp v240, v252, v160 quad_perm:[0,0,0,0] row_mask:0xf bank_mask:0xf// 000000026950: 0BE140FA FF0000FC
	v_mul_f32_dpp v241, v252, v161 quad_perm:[1,1,1,1] row_mask:0xf bank_mask:0xf// 000000026958: 0BE342FA FF0055FC
	v_mul_f32_dpp v242, v252, v162 quad_perm:[2,2,2,2] row_mask:0xf bank_mask:0xf// 000000026960: 0BE544FA FF00AAFC
	v_mul_f32_dpp v243, v252, v163 quad_perm:[3,3,3,3] row_mask:0xf bank_mask:0xf// 000000026968: 0BE746FA FF00FFFC
	v_mul_f32_dpp v244, v253, v164 quad_perm:[0,0,0,0] row_mask:0xf bank_mask:0xf// 000000026970: 0BE948FA FF0000FD
	v_mul_f32_dpp v245, v253, v165 quad_perm:[1,1,1,1] row_mask:0xf bank_mask:0xf// 000000026978: 0BEB4AFA FF0055FD
	v_mul_f32_dpp v246, v253, v166 quad_perm:[2,2,2,2] row_mask:0xf bank_mask:0xf// 000000026980: 0BED4CFA FF00AAFD
	v_mul_f32_dpp v247, v253, v167 quad_perm:[3,3,3,3] row_mask:0xf bank_mask:0xf// 000000026988: 0BEF4EFA FF00FFFD
	v_mul_f32_dpp v248, v254, v168 quad_perm:[0,0,0,0] row_mask:0xf bank_mask:0xf// 000000026990: 0BF150FA FF0000FE
	v_mul_f32_dpp v249, v254, v169 quad_perm:[1,1,1,1] row_mask:0xf bank_mask:0xf// 000000026998: 0BF352FA FF0055FE
	v_mul_f32_dpp v250, v254, v170 quad_perm:[2,2,2,2] row_mask:0xf bank_mask:0xf// 0000000269A0: 0BF554FA FF00AAFE
	v_mul_f32_dpp v251, v254, v171 quad_perm:[3,3,3,3] row_mask:0xf bank_mask:0xf// 0000000269A8: 0BF756FA FF00FFFE
	v_mul_f32_dpp v252, v255, v172 quad_perm:[0,0,0,0] row_mask:0xf bank_mask:0xf// 0000000269B0: 0BF958FA FF0000FF
	v_mul_f32_dpp v253, v255, v173 quad_perm:[1,1,1,1] row_mask:0xf bank_mask:0xf// 0000000269B8: 0BFB5AFA FF0055FF
	v_mul_f32_dpp v254, v255, v174 quad_perm:[2,2,2,2] row_mask:0xf bank_mask:0xf// 0000000269C0: 0BFD5CFA FF00AAFF
	v_mul_f32_dpp v255, v255, v175 quad_perm:[3,3,3,3] row_mask:0xf bank_mask:0xf// 0000000269C8: 0BFF5EFA FF00FFFF
	v_mov_b32_e32 v48, 0x358637bd                              // 0000000269D0: 7E6002FF 358637BD
	v_max3_f32 v48, |v240|, |v241|, v48                        // 0000000269D8: D1D30330 04C3E3F0
	v_max3_f32 v48, |v242|, |v243|, v48                        // 0000000269E0: D1D30330 04C3E7F2
	v_max3_f32 v48, |v244|, |v245|, v48                        // 0000000269E8: D1D30330 04C3EBF4
	v_max3_f32 v48, |v246|, |v247|, v48                        // 0000000269F0: D1D30330 04C3EFF6
	v_max3_f32 v48, |v248|, |v249|, v48                        // 0000000269F8: D1D30330 04C3F3F8
	v_max3_f32 v48, |v250|, |v251|, v48                        // 000000026A00: D1D30330 04C3F7FA
	v_max3_f32 v48, |v252|, |v253|, v48                        // 000000026A08: D1D30330 04C3FBFC
	v_max3_f32 v48, |v254|, |v255|, v48                        // 000000026A10: D1D30330 04C3FFFE
	ds_write_b32 v8, v48 offset:20992                          // 000000026A18: D81A5200 00003008
	v_sub_f32_e32 v52, v14, v15                                // 000000026A20: 04681F0E
	v_cndmask_b32_e64 v52, v52, 0, s[40:41]                    // 000000026A24: D1000034 00A10134
	v_mov_b32_e32 v14, v15                                     // 000000026A2C: 7E1C030F
	v_mul_f32_e32 v52, s64, v52                                // 000000026A30: 0A686840
	v_exp_f32_e32 v52, v52                                     // 000000026A34: 7E684134
	s_waitcnt lgkmcnt(0)                                       // 000000026A38: BF8CC07F
	s_barrier                                                  // 000000026A3C: BF8A0000
	ds_read_b32 v64, v7 offset:20992                           // 000000026A40: D86C5200 40000007
	ds_read_b32 v65, v7 offset:21056                           // 000000026A48: D86C5240 41000007
	ds_read_b32 v66, v7 offset:21120                           // 000000026A50: D86C5280 42000007
	ds_read_b32 v67, v7 offset:21184                           // 000000026A58: D86C52C0 43000007
	ds_read_b32 v68, v7 offset:21248                           // 000000026A60: D86C5300 44000007
	ds_read_b32 v69, v7 offset:21312                           // 000000026A68: D86C5340 45000007
	ds_read_b32 v70, v7 offset:21376                           // 000000026A70: D86C5380 46000007
	ds_read_b32 v71, v7 offset:21440                           // 000000026A78: D86C53C0 47000007
	ds_read_b32 v72, v7 offset:21504                           // 000000026A80: D86C5400 48000007
	ds_read_b32 v73, v7 offset:21568                           // 000000026A88: D86C5440 49000007
	ds_read_b32 v74, v7 offset:21632                           // 000000026A90: D86C5480 4A000007
	ds_read_b32 v75, v7 offset:21696                           // 000000026A98: D86C54C0 4B000007
	ds_read_b32 v76, v7 offset:21760                           // 000000026AA0: D86C5500 4C000007
	ds_read_b32 v77, v7 offset:21824                           // 000000026AA8: D86C5540 4D000007
	ds_read_b32 v78, v7 offset:21888                           // 000000026AB0: D86C5580 4E000007
	ds_read_b32 v79, v7 offset:21952                           // 000000026AB8: D86C55C0 4F000007
	v_mul_f32_e32 v41, v52, v41                                // 000000026AC0: 0A525334
	v_mov_b32_e32 v15, v160                                    // 000000026AC4: 7E1E03A0
	v_add_f32_e32 v15, v161, v15                               // 000000026AC8: 021E1FA1
	v_add_f32_e32 v15, v162, v15                               // 000000026ACC: 021E1FA2
	v_add_f32_e32 v15, v163, v15                               // 000000026AD0: 021E1FA3
	v_add_f32_e32 v15, v164, v15                               // 000000026AD4: 021E1FA4
	v_add_f32_e32 v15, v165, v15                               // 000000026AD8: 021E1FA5
	v_add_f32_e32 v15, v166, v15                               // 000000026ADC: 021E1FA6
	v_add_f32_e32 v15, v167, v15                               // 000000026AE0: 021E1FA7
	v_add_f32_e32 v15, v168, v15                               // 000000026AE4: 021E1FA8
	v_add_f32_e32 v15, v169, v15                               // 000000026AE8: 021E1FA9
	v_add_f32_e32 v15, v170, v15                               // 000000026AEC: 021E1FAA
	v_add_f32_e32 v15, v171, v15                               // 000000026AF0: 021E1FAB
	v_add_f32_e32 v15, v172, v15                               // 000000026AF4: 021E1FAC
	v_add_f32_e32 v15, v173, v15                               // 000000026AF8: 021E1FAD
	v_add_f32_e32 v15, v174, v15                               // 000000026AFC: 021E1FAE
	v_add_f32_e32 v15, v175, v15                               // 000000026B00: 021E1FAF
	v_add_f32_e32 v41, v15, v41                                // 000000026B04: 0252530F
	s_waitcnt lgkmcnt(0)                                       // 000000026B08: BF8CC07F
	v_max3_f32 v48, |v64|, |v65|, v48                          // 000000026B0C: D1D30330 04C28340
	v_max3_f32 v48, |v66|, |v67|, v48                          // 000000026B14: D1D30330 04C28742
	v_max3_f32 v48, |v68|, |v69|, v48                          // 000000026B1C: D1D30330 04C28B44
	v_max3_f32 v48, |v70|, |v71|, v48                          // 000000026B24: D1D30330 04C28F46
	v_max3_f32 v48, |v72|, |v73|, v48                          // 000000026B2C: D1D30330 04C29348
	v_max3_f32 v48, |v74|, |v75|, v48                          // 000000026B34: D1D30330 04C2974A
	v_max3_f32 v48, |v76|, |v77|, v48                          // 000000026B3C: D1D30330 04C29B4C
	v_max3_f32 v48, |v78|, |v79|, v48                          // 000000026B44: D1D30330 04C29F4E
	s_nop 2                                                    // 000000026B4C: BF800002
	v_rcp_f32_e32 v48, v48                                     // 000000026B50: 7E604530
	s_nop 1                                                    // 000000026B54: BF800001
	v_mul_f32_e32 v48, 0x43e00000, v48                         // 000000026B58: 0A6060FF 43E00000
	v_mul_f32_e32 v160, v48, v240                              // 000000026B60: 0B41E130
	v_mul_f32_e32 v161, v48, v241                              // 000000026B64: 0B43E330
	v_mul_f32_e32 v162, v48, v242                              // 000000026B68: 0B45E530
	v_mul_f32_e32 v163, v48, v243                              // 000000026B6C: 0B47E730
	v_mul_f32_e32 v164, v48, v244                              // 000000026B70: 0B49E930
	v_mul_f32_e32 v165, v48, v245                              // 000000026B74: 0B4BEB30
	v_mul_f32_e32 v166, v48, v246                              // 000000026B78: 0B4DED30
	v_mul_f32_e32 v167, v48, v247                              // 000000026B7C: 0B4FEF30
	v_mul_f32_e32 v168, v48, v248                              // 000000026B80: 0B51F130
	v_mul_f32_e32 v169, v48, v249                              // 000000026B84: 0B53F330
	v_mul_f32_e32 v170, v48, v250                              // 000000026B88: 0B55F530
	v_mul_f32_e32 v171, v48, v251                              // 000000026B8C: 0B57F730
	v_mul_f32_e32 v172, v48, v252                              // 000000026B90: 0B59F930
	v_mul_f32_e32 v173, v48, v253                              // 000000026B94: 0B5BFB30
	v_mul_f32_e32 v174, v48, v254                              // 000000026B98: 0B5DFD30
	v_mul_f32_e32 v175, v48, v255                              // 000000026B9C: 0B5FFF30
	v_cvt_pk_fp8_f32 v160, v160, v161                          // 000000026BA0: D2A200A0 000343A0
	v_cvt_pk_fp8_f32 v160, v162, v163 op_sel:[0,0,1]           // 000000026BA8: D2A240A0 000347A2
	v_cvt_pk_fp8_f32 v161, v164, v165                          // 000000026BB0: D2A200A1 00034BA4
	v_cvt_pk_fp8_f32 v161, v166, v167 op_sel:[0,0,1]           // 000000026BB8: D2A240A1 00034FA6
	v_cvt_pk_fp8_f32 v162, v168, v169                          // 000000026BC0: D2A200A2 000353A8
	v_cvt_pk_fp8_f32 v162, v170, v171 op_sel:[0,0,1]           // 000000026BC8: D2A240A2 000357AA
	v_cvt_pk_fp8_f32 v163, v172, v173                          // 000000026BD0: D2A200A3 00035BAC
	v_cvt_pk_fp8_f32 v163, v174, v175 op_sel:[0,0,1]           // 000000026BD8: D2A240A3 00035FAE
	ds_write_b32 v10, v160 offset:37376                        // 000000026BE0: D81A9200 0000A00A
	ds_write_b32 v10, v161 offset:38400                        // 000000026BE8: D81A9600 0000A10A
	ds_write_b32 v10, v162 offset:39424                        // 000000026BF0: D81A9A00 0000A20A
	ds_write_b32 v10, v163 offset:40448                        // 000000026BF8: D81A9E00 0000A30A
	v_add_f32_e32 v232, v232, v200                             // 000000026C00: 03D191E8
	v_add_f32_e32 v233, v233, v201                             // 000000026C04: 03D393E9
	v_add_f32_e32 v234, v234, v202                             // 000000026C08: 03D595EA
	v_add_f32_e32 v235, v235, v203                             // 000000026C0C: 03D797EB
	v_add_f32_e32 v236, v236, v204                             // 000000026C10: 03D999EC
	v_add_f32_e32 v237, v237, v205                             // 000000026C14: 03DB9BED
	v_add_f32_e32 v238, v238, v206                             // 000000026C18: 03DD9DEE
	v_add_f32_e32 v239, v239, v207                             // 000000026C1C: 03DF9FEF
	v_rcp_f32_e32 v47, v48                                     // 000000026C20: 7E5E4530
	s_waitcnt lgkmcnt(0)                                       // 000000026C24: BF8CC07F
	s_barrier                                                  // 000000026C28: BF8A0000
	ds_read_b64 v[160:161], v9 offset:37376                    // 000000026C2C: D8EC9200 A0000009
	ds_read_b64 v[162:163], v9 offset:37504                    // 000000026C34: D8EC9280 A2000009
	ds_read_b64 v[164:165], v9 offset:38400                    // 000000026C3C: D8EC9600 A4000009
	ds_read_b64 v[166:167], v9 offset:38528                    // 000000026C44: D8EC9680 A6000009
	ds_read_b64 v[168:169], v9 offset:39424                    // 000000026C4C: D8EC9A00 A8000009
	ds_read_b64 v[170:171], v9 offset:39552                    // 000000026C54: D8EC9A80 AA000009
	ds_read_b64 v[172:173], v9 offset:40448                    // 000000026C5C: D8EC9E00 AC000009
	ds_read_b64 v[174:175], v9 offset:40576                    // 000000026C64: D8EC9E80 AE000009
	s_waitcnt vmcnt(0)                                         // 000000026C6C: BF8C0F70
	s_barrier                                                  // 000000026C70: BF8A0000
	v_mfma_f32_16x16x32_fp8_fp8 v[176:179], a[96:97], v[112:113], 0// 000000026C74: D3F300B0 0A02E160
	v_mfma_f32_16x16x32_fp8_fp8 v[176:179], a[98:99], v[114:115], v[176:179]// 000000026C7C: D3F300B0 0EC2E562
	v_mfma_f32_16x16x32_fp8_fp8 v[176:179], a[100:101], v[116:117], v[176:179]// 000000026C84: D3F300B0 0EC2E964
	v_mfma_f32_16x16x32_fp8_fp8 v[176:179], a[102:103], v[118:119], v[176:179]// 000000026C8C: D3F300B0 0EC2ED66
	v_mfma_f32_16x16x32_fp8_fp8 v[176:179], a[104:105], v[120:121], v[176:179]// 000000026C94: D3F300B0 0EC2F168
	v_mfma_f32_16x16x32_fp8_fp8 v[176:179], a[106:107], v[122:123], v[176:179]// 000000026C9C: D3F300B0 0EC2F56A
	v_mfma_f32_16x16x32_fp8_fp8 v[176:179], a[108:109], v[124:125], v[176:179]// 000000026CA4: D3F300B0 0EC2F96C
	v_mfma_f32_16x16x32_fp8_fp8 v[176:179], a[110:111], v[126:127], v[176:179]// 000000026CAC: D3F300B0 0EC2FD6E
	v_mfma_f32_16x16x32_fp8_fp8 v[180:183], a[112:113], v[112:113], 0// 000000026CB4: D3F300B4 0A02E170
	v_mfma_f32_16x16x32_fp8_fp8 v[180:183], a[114:115], v[114:115], v[180:183]// 000000026CBC: D3F300B4 0ED2E572
	v_mfma_f32_16x16x32_fp8_fp8 v[180:183], a[116:117], v[116:117], v[180:183]// 000000026CC4: D3F300B4 0ED2E974
	v_mfma_f32_16x16x32_fp8_fp8 v[180:183], a[118:119], v[118:119], v[180:183]// 000000026CCC: D3F300B4 0ED2ED76
	v_mfma_f32_16x16x32_fp8_fp8 v[180:183], a[120:121], v[120:121], v[180:183]// 000000026CD4: D3F300B4 0ED2F178
	v_mfma_f32_16x16x32_fp8_fp8 v[180:183], a[122:123], v[122:123], v[180:183]// 000000026CDC: D3F300B4 0ED2F57A
	v_mfma_f32_16x16x32_fp8_fp8 v[180:183], a[124:125], v[124:125], v[180:183]// 000000026CE4: D3F300B4 0ED2F97C
	v_mfma_f32_16x16x32_fp8_fp8 v[180:183], a[126:127], v[126:127], v[180:183]// 000000026CEC: D3F300B4 0ED2FD7E
	v_mfma_f32_16x16x32_fp8_fp8 v[184:187], a[96:97], v[128:129], 0// 000000026CF4: D3F300B8 0A030160
	v_mfma_f32_16x16x32_fp8_fp8 v[184:187], a[98:99], v[130:131], v[184:187]// 000000026CFC: D3F300B8 0EE30562
	v_mfma_f32_16x16x32_fp8_fp8 v[184:187], a[100:101], v[132:133], v[184:187]// 000000026D04: D3F300B8 0EE30964
	v_mfma_f32_16x16x32_fp8_fp8 v[184:187], a[102:103], v[134:135], v[184:187]// 000000026D0C: D3F300B8 0EE30D66
	v_mfma_f32_16x16x32_fp8_fp8 v[184:187], a[104:105], v[136:137], v[184:187]// 000000026D14: D3F300B8 0EE31168
	v_mfma_f32_16x16x32_fp8_fp8 v[184:187], a[106:107], v[138:139], v[184:187]// 000000026D1C: D3F300B8 0EE3156A
	v_mfma_f32_16x16x32_fp8_fp8 v[184:187], a[108:109], v[140:141], v[184:187]// 000000026D24: D3F300B8 0EE3196C
	v_mfma_f32_16x16x32_fp8_fp8 v[184:187], a[110:111], v[142:143], v[184:187]// 000000026D2C: D3F300B8 0EE31D6E
	v_mfma_f32_16x16x32_fp8_fp8 v[188:191], a[112:113], v[128:129], 0// 000000026D34: D3F300BC 0A030170
	v_mfma_f32_16x16x32_fp8_fp8 v[188:191], a[114:115], v[130:131], v[188:191]// 000000026D3C: D3F300BC 0EF30572
	v_mfma_f32_16x16x32_fp8_fp8 v[188:191], a[116:117], v[132:133], v[188:191]// 000000026D44: D3F300BC 0EF30974
	v_mfma_f32_16x16x32_fp8_fp8 v[188:191], a[118:119], v[134:135], v[188:191]// 000000026D4C: D3F300BC 0EF30D76
	v_mfma_f32_16x16x32_fp8_fp8 v[188:191], a[120:121], v[136:137], v[188:191]// 000000026D54: D3F300BC 0EF31178
	v_mfma_f32_16x16x32_fp8_fp8 v[188:191], a[122:123], v[138:139], v[188:191]// 000000026D5C: D3F300BC 0EF3157A
	v_mfma_f32_16x16x32_fp8_fp8 v[188:191], a[124:125], v[140:141], v[188:191]// 000000026D64: D3F300BC 0EF3197C
	v_mfma_f32_16x16x32_fp8_fp8 v[188:191], a[126:127], v[142:143], v[188:191]// 000000026D6C: D3F300BC 0EF31D7E
	v_mfma_f32_16x16x32_fp8_fp8 v[192:195], a[96:97], v[144:145], 0// 000000026D74: D3F300C0 0A032160
	v_mfma_f32_16x16x32_fp8_fp8 v[192:195], a[98:99], v[146:147], v[192:195]// 000000026D7C: D3F300C0 0F032562
	v_mfma_f32_16x16x32_fp8_fp8 v[192:195], a[100:101], v[148:149], v[192:195]// 000000026D84: D3F300C0 0F032964
	v_mfma_f32_16x16x32_fp8_fp8 v[192:195], a[102:103], v[150:151], v[192:195]// 000000026D8C: D3F300C0 0F032D66
	v_mfma_f32_16x16x32_fp8_fp8 v[192:195], a[104:105], v[152:153], v[192:195]// 000000026D94: D3F300C0 0F033168
	v_mfma_f32_16x16x32_fp8_fp8 v[192:195], a[106:107], v[154:155], v[192:195]// 000000026D9C: D3F300C0 0F03356A
	v_mfma_f32_16x16x32_fp8_fp8 v[192:195], a[108:109], v[156:157], v[192:195]// 000000026DA4: D3F300C0 0F03396C
	v_mfma_f32_16x16x32_fp8_fp8 v[192:195], a[110:111], v[158:159], v[192:195]// 000000026DAC: D3F300C0 0F033D6E
	v_mfma_f32_16x16x32_fp8_fp8 v[196:199], a[112:113], v[144:145], 0// 000000026DB4: D3F300C4 0A032170
	v_mfma_f32_16x16x32_fp8_fp8 v[196:199], a[114:115], v[146:147], v[196:199]// 000000026DBC: D3F300C4 0F132572
	v_mfma_f32_16x16x32_fp8_fp8 v[196:199], a[116:117], v[148:149], v[196:199]// 000000026DC4: D3F300C4 0F132974
	v_mfma_f32_16x16x32_fp8_fp8 v[196:199], a[118:119], v[150:151], v[196:199]// 000000026DCC: D3F300C4 0F132D76
	v_mfma_f32_16x16x32_fp8_fp8 v[196:199], a[120:121], v[152:153], v[196:199]// 000000026DD4: D3F300C4 0F133178
	v_mfma_f32_16x16x32_fp8_fp8 v[196:199], a[122:123], v[154:155], v[196:199]// 000000026DDC: D3F300C4 0F13357A
	v_mfma_f32_16x16x32_fp8_fp8 v[196:199], a[124:125], v[156:157], v[196:199]// 000000026DE4: D3F300C4 0F13397C
	v_mfma_f32_16x16x32_fp8_fp8 v[196:199], a[126:127], v[158:159], v[196:199]// 000000026DEC: D3F300C4 0F133D7E
	v_mfma_f32_16x16x32_fp8_fp8 v[200:203], a[96:97], v[160:161], 0// 000000026DF4: D3F300C8 0A034160
	v_mfma_f32_16x16x32_fp8_fp8 v[200:203], a[98:99], v[162:163], v[200:203]// 000000026DFC: D3F300C8 0F234562
	v_mfma_f32_16x16x32_fp8_fp8 v[200:203], a[100:101], v[164:165], v[200:203]// 000000026E04: D3F300C8 0F234964
	v_mfma_f32_16x16x32_fp8_fp8 v[200:203], a[102:103], v[166:167], v[200:203]// 000000026E0C: D3F300C8 0F234D66
	v_mfma_f32_16x16x32_fp8_fp8 v[200:203], a[104:105], v[168:169], v[200:203]// 000000026E14: D3F300C8 0F235168
	v_mfma_f32_16x16x32_fp8_fp8 v[200:203], a[106:107], v[170:171], v[200:203]// 000000026E1C: D3F300C8 0F23556A
	v_mfma_f32_16x16x32_fp8_fp8 v[200:203], a[108:109], v[172:173], v[200:203]// 000000026E24: D3F300C8 0F23596C
	v_mfma_f32_16x16x32_fp8_fp8 v[200:203], a[110:111], v[174:175], v[200:203]// 000000026E2C: D3F300C8 0F235D6E
	v_mfma_f32_16x16x32_fp8_fp8 v[204:207], a[112:113], v[160:161], 0// 000000026E34: D3F300CC 0A034170
	v_mfma_f32_16x16x32_fp8_fp8 v[204:207], a[114:115], v[162:163], v[204:207]// 000000026E3C: D3F300CC 0F334572
	v_mfma_f32_16x16x32_fp8_fp8 v[204:207], a[116:117], v[164:165], v[204:207]// 000000026E44: D3F300CC 0F334974
	v_mfma_f32_16x16x32_fp8_fp8 v[204:207], a[118:119], v[166:167], v[204:207]// 000000026E4C: D3F300CC 0F334D76
	v_mfma_f32_16x16x32_fp8_fp8 v[204:207], a[120:121], v[168:169], v[204:207]// 000000026E54: D3F300CC 0F335178
	v_mfma_f32_16x16x32_fp8_fp8 v[204:207], a[122:123], v[170:171], v[204:207]// 000000026E5C: D3F300CC 0F33557A
	v_mfma_f32_16x16x32_fp8_fp8 v[204:207], a[124:125], v[172:173], v[204:207]// 000000026E64: D3F300CC 0F33597C
	v_mfma_f32_16x16x32_fp8_fp8 v[204:207], a[126:127], v[174:175], v[204:207]// 000000026E6C: D3F300CC 0F335D7E
	s_nop 4                                                    // 000000026E74: BF800004
	s_branch label_931F                                        // 000000026E78: BF820000

0000000000026e7c <label_931F>:
	v_mul_f32_e32 v208, v49, v208                              // 000000026E7C: 0BA1A131
	v_mul_f32_e32 v209, v49, v209                              // 000000026E80: 0BA3A331
	v_mul_f32_e32 v210, v49, v210                              // 000000026E84: 0BA5A531
	v_mul_f32_e32 v211, v49, v211                              // 000000026E88: 0BA7A731
	v_mul_f32_e32 v212, v49, v212                              // 000000026E8C: 0BA9A931
	v_mul_f32_e32 v213, v49, v213                              // 000000026E90: 0BABAB31
	v_mul_f32_e32 v214, v49, v214                              // 000000026E94: 0BADAD31
	v_mul_f32_e32 v215, v49, v215                              // 000000026E98: 0BAFAF31
	v_mul_f32_e32 v176, v44, v176                              // 000000026E9C: 0B61612C
	v_mul_f32_e32 v177, v44, v177                              // 000000026EA0: 0B63632C
	v_mul_f32_e32 v178, v44, v178                              // 000000026EA4: 0B65652C
	v_mul_f32_e32 v179, v44, v179                              // 000000026EA8: 0B67672C
	v_mul_f32_e32 v180, v44, v180                              // 000000026EAC: 0B69692C
	v_mul_f32_e32 v181, v44, v181                              // 000000026EB0: 0B6B6B2C
	v_mul_f32_e32 v182, v44, v182                              // 000000026EB4: 0B6D6D2C
	v_mul_f32_e32 v183, v44, v183                              // 000000026EB8: 0B6F6F2C
	v_add_f32_e32 v208, v208, v176                             // 000000026EBC: 03A161D0
	v_add_f32_e32 v209, v209, v177                             // 000000026EC0: 03A363D1
	v_add_f32_e32 v210, v210, v178                             // 000000026EC4: 03A565D2
	v_add_f32_e32 v211, v211, v179                             // 000000026EC8: 03A767D3
	v_add_f32_e32 v212, v212, v180                             // 000000026ECC: 03A969D4
	v_add_f32_e32 v213, v213, v181                             // 000000026ED0: 03AB6BD5
	v_add_f32_e32 v214, v214, v182                             // 000000026ED4: 03AD6DD6
	v_add_f32_e32 v215, v215, v183                             // 000000026ED8: 03AF6FD7
	ds_write_b32 v8, v38 offset:16896                          // 000000026EDC: D81A4200 00002608
	s_waitcnt lgkmcnt(0)                                       // 000000026EE4: BF8CC07F
	s_barrier                                                  // 000000026EE8: BF8A0000
	ds_read_b32 v64, v7 offset:16896                           // 000000026EEC: D86C4200 40000007
	ds_read_b32 v65, v7 offset:16960                           // 000000026EF4: D86C4240 41000007
	ds_read_b32 v66, v7 offset:17024                           // 000000026EFC: D86C4280 42000007
	ds_read_b32 v67, v7 offset:17088                           // 000000026F04: D86C42C0 43000007
	ds_read_b32 v68, v7 offset:17152                           // 000000026F0C: D86C4300 44000007
	ds_read_b32 v69, v7 offset:17216                           // 000000026F14: D86C4340 45000007
	ds_read_b32 v70, v7 offset:17280                           // 000000026F1C: D86C4380 46000007
	ds_read_b32 v71, v7 offset:17344                           // 000000026F24: D86C43C0 47000007
	ds_read_b32 v72, v7 offset:17408                           // 000000026F2C: D86C4400 48000007
	ds_read_b32 v73, v7 offset:17472                           // 000000026F34: D86C4440 49000007
	ds_read_b32 v74, v7 offset:17536                           // 000000026F3C: D86C4480 4A000007
	ds_read_b32 v75, v7 offset:17600                           // 000000026F44: D86C44C0 4B000007
	ds_read_b32 v76, v7 offset:17664                           // 000000026F4C: D86C4500 4C000007
	ds_read_b32 v77, v7 offset:17728                           // 000000026F54: D86C4540 4D000007
	ds_read_b32 v78, v7 offset:17792                           // 000000026F5C: D86C4580 4E000007
	ds_read_b32 v79, v7 offset:17856                           // 000000026F64: D86C45C0 4F000007
	s_waitcnt lgkmcnt(0)                                       // 000000026F6C: BF8CC07F
	v_mov_b32_e32 v38, 0                                       // 000000026F70: 7E4C0280
	v_add_f32_e32 v38, v64, v38                                // 000000026F74: 024C4D40
	v_add_f32_e32 v38, v65, v38                                // 000000026F78: 024C4D41
	v_add_f32_e32 v38, v66, v38                                // 000000026F7C: 024C4D42
	v_add_f32_e32 v38, v67, v38                                // 000000026F80: 024C4D43
	v_add_f32_e32 v38, v68, v38                                // 000000026F84: 024C4D44
	v_add_f32_e32 v38, v69, v38                                // 000000026F88: 024C4D45
	v_add_f32_e32 v38, v70, v38                                // 000000026F8C: 024C4D46
	v_add_f32_e32 v38, v71, v38                                // 000000026F90: 024C4D47
	v_add_f32_e32 v38, v72, v38                                // 000000026F94: 024C4D48
	v_add_f32_e32 v38, v73, v38                                // 000000026F98: 024C4D49
	v_add_f32_e32 v38, v74, v38                                // 000000026F9C: 024C4D4A
	v_add_f32_e32 v38, v75, v38                                // 000000026FA0: 024C4D4B
	v_add_f32_e32 v38, v76, v38                                // 000000026FA4: 024C4D4C
	v_add_f32_e32 v38, v77, v38                                // 000000026FA8: 024C4D4D
	v_add_f32_e32 v38, v78, v38                                // 000000026FAC: 024C4D4E
	v_add_f32_e32 v38, v79, v38                                // 000000026FB0: 024C4D4F
	s_nop 1                                                    // 000000026FB4: BF800001
	v_rcp_f32_e32 v38, v38                                     // 000000026FB8: 7E4C4526
	s_nop 1                                                    // 000000026FBC: BF800001
	v_mul_f32_e32 v208, v38, v208                              // 000000026FC0: 0BA1A126
	v_mul_f32_e32 v209, v38, v209                              // 000000026FC4: 0BA3A326
	v_mul_f32_e32 v210, v38, v210                              // 000000026FC8: 0BA5A526
	v_mul_f32_e32 v211, v38, v211                              // 000000026FCC: 0BA7A726
	v_mul_f32_e32 v212, v38, v212                              // 000000026FD0: 0BA9A926
	v_mul_f32_e32 v213, v38, v213                              // 000000026FD4: 0BABAB26
	v_mul_f32_e32 v214, v38, v214                              // 000000026FD8: 0BADAD26
	v_mul_f32_e32 v215, v38, v215                              // 000000026FDC: 0BAFAF26
	v_mov_b32_e32 v19, 0xffff0000                              // 000000026FE0: 7E2602FF FFFF0000
	v_mov_b32_e32 v20, 0x7fff0000                              // 000000026FE8: 7E2802FF 7FFF0000
	v_mov_b32_e32 v21, 0x7fff                                  // 000000026FF0: 7E2A02FF 00007FFF
	v_cmp_u_f32_e64 s[40:41], v208, v208                       // 000000026FF8: D0480028 0003A1D0
	v_add3_u32 v18, v208, v21, 1                               // 000000027000: D1FF0012 02062BD0
	v_cndmask_b32_e64 v64, v18, v20, s[40:41]                  // 000000027008: D1000040 00A22912
	v_cmp_u_f32_e64 s[40:41], v209, v209                       // 000000027010: D0480028 0003A3D1
	v_add3_u32 v18, v209, v21, 1                               // 000000027018: D1FF0012 02062BD1
	v_cndmask_b32_e64 v65, v18, v20, s[40:41]                  // 000000027020: D1000041 00A22912
	v_perm_b32 v208, v65, v64, s52                             // 000000027028: D1ED00D0 00D28141
	v_cmp_u_f32_e64 s[40:41], v210, v210                       // 000000027030: D0480028 0003A5D2
	v_add3_u32 v18, v210, v21, 1                               // 000000027038: D1FF0012 02062BD2
	v_cndmask_b32_e64 v64, v18, v20, s[40:41]                  // 000000027040: D1000040 00A22912
	v_cmp_u_f32_e64 s[40:41], v211, v211                       // 000000027048: D0480028 0003A7D3
	v_add3_u32 v18, v211, v21, 1                               // 000000027050: D1FF0012 02062BD3
	v_cndmask_b32_e64 v65, v18, v20, s[40:41]                  // 000000027058: D1000041 00A22912
	v_perm_b32 v209, v65, v64, s52                             // 000000027060: D1ED00D1 00D28141
	v_cmp_u_f32_e64 s[40:41], v212, v212                       // 000000027068: D0480028 0003A9D4
	v_add3_u32 v18, v212, v21, 1                               // 000000027070: D1FF0012 02062BD4
	v_cndmask_b32_e64 v64, v18, v20, s[40:41]                  // 000000027078: D1000040 00A22912
	v_cmp_u_f32_e64 s[40:41], v213, v213                       // 000000027080: D0480028 0003ABD5
	v_add3_u32 v18, v213, v21, 1                               // 000000027088: D1FF0012 02062BD5
	v_cndmask_b32_e64 v65, v18, v20, s[40:41]                  // 000000027090: D1000041 00A22912
	v_perm_b32 v210, v65, v64, s52                             // 000000027098: D1ED00D2 00D28141
	v_cmp_u_f32_e64 s[40:41], v214, v214                       // 0000000270A0: D0480028 0003ADD6
	v_add3_u32 v18, v214, v21, 1                               // 0000000270A8: D1FF0012 02062BD6
	v_cndmask_b32_e64 v64, v18, v20, s[40:41]                  // 0000000270B0: D1000040 00A22912
	v_cmp_u_f32_e64 s[40:41], v215, v215                       // 0000000270B8: D0480028 0003AFD7
	v_add3_u32 v18, v215, v21, 1                               // 0000000270C0: D1FF0012 02062BD7
	v_cndmask_b32_e64 v65, v18, v20, s[40:41]                  // 0000000270C8: D1000041 00A22912
	v_perm_b32 v211, v65, v64, s52                             // 0000000270D0: D1ED00D3 00D28141
	s_nop 1                                                    // 0000000270D8: BF800001
	v_lshrrev_b32_e32 v64, 4, v0                               // 0000000270DC: 20800084
	v_mul_i32_i24_e32 v68, 34, v64                             // 0000000270E0: 0C8880A2
	v_and_b32_e32 v64, 15, v0                                  // 0000000270E4: 2680008F
	v_mul_i32_i24_e32 v65, 2, v64                              // 0000000270E8: 0C828082
	v_add_u32_e32 v68, v65, v68                                // 0000000270EC: 68888941
	s_mul_i32 s60, s7, 0x88                                    // 0000000270F0: 923CFF07 00000088
	v_add_u32_e32 v68, s60, v68                                // 0000000270F8: 6888883C
	v_lshlrev_b32_e32 v68, 2, v68                              // 0000000270FC: 24888882
	ds_write_b64 v68, v[208:209] offset:41472                  // 000000027100: D89AA200 0000D044
	ds_write_b64 v68, v[210:211] offset:43648                  // 000000027108: D89AAA80 0000D244
	v_lshrrev_b32_e32 v64, 1, v0                               // 000000027110: 20800081
	v_mul_i32_i24_e32 v68, 34, v64                             // 000000027114: 0C8880A2
	v_and_b32_e32 v65, 1, v0                                   // 000000027118: 26820081
	v_add_u32_e32 v68, v65, v68                                // 00000002711C: 68888941
	s_mul_i32 s60, s7, 2                                       // 000000027120: 923C8207
	v_add_u32_e32 v68, s60, v68                                // 000000027124: 6888883C
	v_lshlrev_b32_e32 v68, 2, v68                              // 000000027128: 24888882
	s_waitcnt lgkmcnt(0)                                       // 00000002712C: BF8CC07F
	s_barrier                                                  // 000000027130: BF8A0000
	ds_read_b32 v208, v68 offset:41472                         // 000000027134: D86CA200 D0000044
	ds_read_b32 v209, v68 offset:41504                         // 00000002713C: D86CA220 D1000044
	ds_read_b32 v210, v68 offset:41536                         // 000000027144: D86CA240 D2000044
	ds_read_b32 v211, v68 offset:41568                         // 00000002714C: D86CA260 D3000044
	s_mul_i32 s60, s7, 0x100                                   // 000000027154: 923CFF07 00000100
	v_lshlrev_b32_e32 v64, 2, v0                               // 00000002715C: 24800082
	v_add_u32_e64 v64, v64, s60                                // 000000027160: D1340040 00007940
	s_waitcnt lgkmcnt(0)                                       // 000000027168: BF8CC07F
	buffer_store_dword v208, v64, s[8:11], 0 offen             // 00000002716C: E0701000 8002D040
	buffer_store_dword v209, v64, s[8:11], 0 offen offset:1024 // 000000027174: E0701400 8002D140
	buffer_store_dword v210, v64, s[8:11], 0 offen offset:2048 // 00000002717C: E0701800 8002D240
	buffer_store_dword v211, v64, s[8:11], 0 offen offset:3072 // 000000027184: E0701C00 8002D340
	s_add_u32 s8, s75, s8                                      // 00000002718C: 8008084B
	s_addc_u32 s9, 0, s9                                       // 000000027190: 82090980
	v_mul_f32_e32 v216, v50, v216                              // 000000027194: 0BB1B132
	v_mul_f32_e32 v217, v50, v217                              // 000000027198: 0BB3B332
	v_mul_f32_e32 v218, v50, v218                              // 00000002719C: 0BB5B532
	v_mul_f32_e32 v219, v50, v219                              // 0000000271A0: 0BB7B732
	v_mul_f32_e32 v220, v50, v220                              // 0000000271A4: 0BB9B932
	v_mul_f32_e32 v221, v50, v221                              // 0000000271A8: 0BBBBB32
	v_mul_f32_e32 v222, v50, v222                              // 0000000271AC: 0BBDBD32
	v_mul_f32_e32 v223, v50, v223                              // 0000000271B0: 0BBFBF32
	v_mul_f32_e32 v184, v45, v184                              // 0000000271B4: 0B71712D
	v_mul_f32_e32 v185, v45, v185                              // 0000000271B8: 0B73732D
	v_mul_f32_e32 v186, v45, v186                              // 0000000271BC: 0B75752D
	v_mul_f32_e32 v187, v45, v187                              // 0000000271C0: 0B77772D
	v_mul_f32_e32 v188, v45, v188                              // 0000000271C4: 0B79792D
	v_mul_f32_e32 v189, v45, v189                              // 0000000271C8: 0B7B7B2D
	v_mul_f32_e32 v190, v45, v190                              // 0000000271CC: 0B7D7D2D
	v_mul_f32_e32 v191, v45, v191                              // 0000000271D0: 0B7F7F2D
	v_add_f32_e32 v216, v216, v184                             // 0000000271D4: 03B171D8
	v_add_f32_e32 v217, v217, v185                             // 0000000271D8: 03B373D9
	v_add_f32_e32 v218, v218, v186                             // 0000000271DC: 03B575DA
	v_add_f32_e32 v219, v219, v187                             // 0000000271E0: 03B777DB
	v_add_f32_e32 v220, v220, v188                             // 0000000271E4: 03B979DC
	v_add_f32_e32 v221, v221, v189                             // 0000000271E8: 03BB7BDD
	v_add_f32_e32 v222, v222, v190                             // 0000000271EC: 03BD7DDE
	v_add_f32_e32 v223, v223, v191                             // 0000000271F0: 03BF7FDF
	ds_write_b32 v8, v39 offset:16896                          // 0000000271F4: D81A4200 00002708
	s_waitcnt lgkmcnt(0)                                       // 0000000271FC: BF8CC07F
	s_barrier                                                  // 000000027200: BF8A0000
	ds_read_b32 v64, v7 offset:16896                           // 000000027204: D86C4200 40000007
	ds_read_b32 v65, v7 offset:16960                           // 00000002720C: D86C4240 41000007
	ds_read_b32 v66, v7 offset:17024                           // 000000027214: D86C4280 42000007
	ds_read_b32 v67, v7 offset:17088                           // 00000002721C: D86C42C0 43000007
	ds_read_b32 v68, v7 offset:17152                           // 000000027224: D86C4300 44000007
	ds_read_b32 v69, v7 offset:17216                           // 00000002722C: D86C4340 45000007
	ds_read_b32 v70, v7 offset:17280                           // 000000027234: D86C4380 46000007
	ds_read_b32 v71, v7 offset:17344                           // 00000002723C: D86C43C0 47000007
	ds_read_b32 v72, v7 offset:17408                           // 000000027244: D86C4400 48000007
	ds_read_b32 v73, v7 offset:17472                           // 00000002724C: D86C4440 49000007
	ds_read_b32 v74, v7 offset:17536                           // 000000027254: D86C4480 4A000007
	ds_read_b32 v75, v7 offset:17600                           // 00000002725C: D86C44C0 4B000007
	ds_read_b32 v76, v7 offset:17664                           // 000000027264: D86C4500 4C000007
	ds_read_b32 v77, v7 offset:17728                           // 00000002726C: D86C4540 4D000007
	ds_read_b32 v78, v7 offset:17792                           // 000000027274: D86C4580 4E000007
	ds_read_b32 v79, v7 offset:17856                           // 00000002727C: D86C45C0 4F000007
	s_waitcnt lgkmcnt(0)                                       // 000000027284: BF8CC07F
	v_mov_b32_e32 v39, 0                                       // 000000027288: 7E4E0280
	v_add_f32_e32 v39, v64, v39                                // 00000002728C: 024E4F40
	v_add_f32_e32 v39, v65, v39                                // 000000027290: 024E4F41
	v_add_f32_e32 v39, v66, v39                                // 000000027294: 024E4F42
	v_add_f32_e32 v39, v67, v39                                // 000000027298: 024E4F43
	v_add_f32_e32 v39, v68, v39                                // 00000002729C: 024E4F44
	v_add_f32_e32 v39, v69, v39                                // 0000000272A0: 024E4F45
	v_add_f32_e32 v39, v70, v39                                // 0000000272A4: 024E4F46
	v_add_f32_e32 v39, v71, v39                                // 0000000272A8: 024E4F47
	v_add_f32_e32 v39, v72, v39                                // 0000000272AC: 024E4F48
	v_add_f32_e32 v39, v73, v39                                // 0000000272B0: 024E4F49
	v_add_f32_e32 v39, v74, v39                                // 0000000272B4: 024E4F4A
	v_add_f32_e32 v39, v75, v39                                // 0000000272B8: 024E4F4B
	v_add_f32_e32 v39, v76, v39                                // 0000000272BC: 024E4F4C
	v_add_f32_e32 v39, v77, v39                                // 0000000272C0: 024E4F4D
	v_add_f32_e32 v39, v78, v39                                // 0000000272C4: 024E4F4E
	v_add_f32_e32 v39, v79, v39                                // 0000000272C8: 024E4F4F
	s_nop 1                                                    // 0000000272CC: BF800001
	v_rcp_f32_e32 v39, v39                                     // 0000000272D0: 7E4E4527
	s_nop 1                                                    // 0000000272D4: BF800001
	v_mul_f32_e32 v216, v39, v216                              // 0000000272D8: 0BB1B127
	v_mul_f32_e32 v217, v39, v217                              // 0000000272DC: 0BB3B327
	v_mul_f32_e32 v218, v39, v218                              // 0000000272E0: 0BB5B527
	v_mul_f32_e32 v219, v39, v219                              // 0000000272E4: 0BB7B727
	v_mul_f32_e32 v220, v39, v220                              // 0000000272E8: 0BB9B927
	v_mul_f32_e32 v221, v39, v221                              // 0000000272EC: 0BBBBB27
	v_mul_f32_e32 v222, v39, v222                              // 0000000272F0: 0BBDBD27
	v_mul_f32_e32 v223, v39, v223                              // 0000000272F4: 0BBFBF27
	v_mov_b32_e32 v19, 0xffff0000                              // 0000000272F8: 7E2602FF FFFF0000
	v_mov_b32_e32 v20, 0x7fff0000                              // 000000027300: 7E2802FF 7FFF0000
	v_mov_b32_e32 v21, 0x7fff                                  // 000000027308: 7E2A02FF 00007FFF
	v_cmp_u_f32_e64 s[40:41], v216, v216                       // 000000027310: D0480028 0003B1D8
	v_add3_u32 v18, v216, v21, 1                               // 000000027318: D1FF0012 02062BD8
	v_cndmask_b32_e64 v64, v18, v20, s[40:41]                  // 000000027320: D1000040 00A22912
	v_cmp_u_f32_e64 s[40:41], v217, v217                       // 000000027328: D0480028 0003B3D9
	v_add3_u32 v18, v217, v21, 1                               // 000000027330: D1FF0012 02062BD9
	v_cndmask_b32_e64 v65, v18, v20, s[40:41]                  // 000000027338: D1000041 00A22912
	v_perm_b32 v216, v65, v64, s52                             // 000000027340: D1ED00D8 00D28141
	v_cmp_u_f32_e64 s[40:41], v218, v218                       // 000000027348: D0480028 0003B5DA
	v_add3_u32 v18, v218, v21, 1                               // 000000027350: D1FF0012 02062BDA
	v_cndmask_b32_e64 v64, v18, v20, s[40:41]                  // 000000027358: D1000040 00A22912
	v_cmp_u_f32_e64 s[40:41], v219, v219                       // 000000027360: D0480028 0003B7DB
	v_add3_u32 v18, v219, v21, 1                               // 000000027368: D1FF0012 02062BDB
	v_cndmask_b32_e64 v65, v18, v20, s[40:41]                  // 000000027370: D1000041 00A22912
	v_perm_b32 v217, v65, v64, s52                             // 000000027378: D1ED00D9 00D28141
	v_cmp_u_f32_e64 s[40:41], v220, v220                       // 000000027380: D0480028 0003B9DC
	v_add3_u32 v18, v220, v21, 1                               // 000000027388: D1FF0012 02062BDC
	v_cndmask_b32_e64 v64, v18, v20, s[40:41]                  // 000000027390: D1000040 00A22912
	v_cmp_u_f32_e64 s[40:41], v221, v221                       // 000000027398: D0480028 0003BBDD
	v_add3_u32 v18, v221, v21, 1                               // 0000000273A0: D1FF0012 02062BDD
	v_cndmask_b32_e64 v65, v18, v20, s[40:41]                  // 0000000273A8: D1000041 00A22912
	v_perm_b32 v218, v65, v64, s52                             // 0000000273B0: D1ED00DA 00D28141
	v_cmp_u_f32_e64 s[40:41], v222, v222                       // 0000000273B8: D0480028 0003BDDE
	v_add3_u32 v18, v222, v21, 1                               // 0000000273C0: D1FF0012 02062BDE
	v_cndmask_b32_e64 v64, v18, v20, s[40:41]                  // 0000000273C8: D1000040 00A22912
	v_cmp_u_f32_e64 s[40:41], v223, v223                       // 0000000273D0: D0480028 0003BFDF
	v_add3_u32 v18, v223, v21, 1                               // 0000000273D8: D1FF0012 02062BDF
	v_cndmask_b32_e64 v65, v18, v20, s[40:41]                  // 0000000273E0: D1000041 00A22912
	v_perm_b32 v219, v65, v64, s52                             // 0000000273E8: D1ED00DB 00D28141
	s_nop 1                                                    // 0000000273F0: BF800001
	v_lshrrev_b32_e32 v64, 4, v0                               // 0000000273F4: 20800084
	v_mul_i32_i24_e32 v68, 34, v64                             // 0000000273F8: 0C8880A2
	v_and_b32_e32 v64, 15, v0                                  // 0000000273FC: 2680008F
	v_mul_i32_i24_e32 v65, 2, v64                              // 000000027400: 0C828082
	v_add_u32_e32 v68, v65, v68                                // 000000027404: 68888941
	s_mul_i32 s60, s7, 0x88                                    // 000000027408: 923CFF07 00000088
	v_add_u32_e32 v68, s60, v68                                // 000000027410: 6888883C
	v_lshlrev_b32_e32 v68, 2, v68                              // 000000027414: 24888882
	ds_write_b64 v68, v[216:217] offset:41472                  // 000000027418: D89AA200 0000D844
	ds_write_b64 v68, v[218:219] offset:43648                  // 000000027420: D89AAA80 0000DA44
	v_lshrrev_b32_e32 v64, 1, v0                               // 000000027428: 20800081
	v_mul_i32_i24_e32 v68, 34, v64                             // 00000002742C: 0C8880A2
	v_and_b32_e32 v65, 1, v0                                   // 000000027430: 26820081
	v_add_u32_e32 v68, v65, v68                                // 000000027434: 68888941
	s_mul_i32 s60, s7, 2                                       // 000000027438: 923C8207
	v_add_u32_e32 v68, s60, v68                                // 00000002743C: 6888883C
	v_lshlrev_b32_e32 v68, 2, v68                              // 000000027440: 24888882
	s_waitcnt lgkmcnt(0)                                       // 000000027444: BF8CC07F
	s_barrier                                                  // 000000027448: BF8A0000
	ds_read_b32 v216, v68 offset:41472                         // 00000002744C: D86CA200 D8000044
	ds_read_b32 v217, v68 offset:41504                         // 000000027454: D86CA220 D9000044
	ds_read_b32 v218, v68 offset:41536                         // 00000002745C: D86CA240 DA000044
	ds_read_b32 v219, v68 offset:41568                         // 000000027464: D86CA260 DB000044
	s_mul_i32 s60, s7, 0x100                                   // 00000002746C: 923CFF07 00000100
	v_lshlrev_b32_e32 v64, 2, v0                               // 000000027474: 24800082
	v_add_u32_e64 v64, v64, s60                                // 000000027478: D1340040 00007940
	s_waitcnt lgkmcnt(0)                                       // 000000027480: BF8CC07F
	buffer_store_dword v216, v64, s[8:11], 0 offen             // 000000027484: E0701000 8002D840
	buffer_store_dword v217, v64, s[8:11], 0 offen offset:1024 // 00000002748C: E0701400 8002D940
	buffer_store_dword v218, v64, s[8:11], 0 offen offset:2048 // 000000027494: E0701800 8002DA40
	buffer_store_dword v219, v64, s[8:11], 0 offen offset:3072 // 00000002749C: E0701C00 8002DB40
	s_add_u32 s8, s75, s8                                      // 0000000274A4: 8008084B
	s_addc_u32 s9, 0, s9                                       // 0000000274A8: 82090980
	v_mul_f32_e32 v224, v51, v224                              // 0000000274AC: 0BC1C133
	v_mul_f32_e32 v225, v51, v225                              // 0000000274B0: 0BC3C333
	v_mul_f32_e32 v226, v51, v226                              // 0000000274B4: 0BC5C533
	v_mul_f32_e32 v227, v51, v227                              // 0000000274B8: 0BC7C733
	v_mul_f32_e32 v228, v51, v228                              // 0000000274BC: 0BC9C933
	v_mul_f32_e32 v229, v51, v229                              // 0000000274C0: 0BCBCB33
	v_mul_f32_e32 v230, v51, v230                              // 0000000274C4: 0BCDCD33
	v_mul_f32_e32 v231, v51, v231                              // 0000000274C8: 0BCFCF33
	v_mul_f32_e32 v192, v46, v192                              // 0000000274CC: 0B81812E
	v_mul_f32_e32 v193, v46, v193                              // 0000000274D0: 0B83832E
	v_mul_f32_e32 v194, v46, v194                              // 0000000274D4: 0B85852E
	v_mul_f32_e32 v195, v46, v195                              // 0000000274D8: 0B87872E
	v_mul_f32_e32 v196, v46, v196                              // 0000000274DC: 0B89892E
	v_mul_f32_e32 v197, v46, v197                              // 0000000274E0: 0B8B8B2E
	v_mul_f32_e32 v198, v46, v198                              // 0000000274E4: 0B8D8D2E
	v_mul_f32_e32 v199, v46, v199                              // 0000000274E8: 0B8F8F2E
	v_add_f32_e32 v224, v224, v192                             // 0000000274EC: 03C181E0
	v_add_f32_e32 v225, v225, v193                             // 0000000274F0: 03C383E1
	v_add_f32_e32 v226, v226, v194                             // 0000000274F4: 03C585E2
	v_add_f32_e32 v227, v227, v195                             // 0000000274F8: 03C787E3
	v_add_f32_e32 v228, v228, v196                             // 0000000274FC: 03C989E4
	v_add_f32_e32 v229, v229, v197                             // 000000027500: 03CB8BE5
	v_add_f32_e32 v230, v230, v198                             // 000000027504: 03CD8DE6
	v_add_f32_e32 v231, v231, v199                             // 000000027508: 03CF8FE7
	ds_write_b32 v8, v40 offset:16896                          // 00000002750C: D81A4200 00002808
	s_waitcnt lgkmcnt(0)                                       // 000000027514: BF8CC07F
	s_barrier                                                  // 000000027518: BF8A0000
	ds_read_b32 v64, v7 offset:16896                           // 00000002751C: D86C4200 40000007
	ds_read_b32 v65, v7 offset:16960                           // 000000027524: D86C4240 41000007
	ds_read_b32 v66, v7 offset:17024                           // 00000002752C: D86C4280 42000007
	ds_read_b32 v67, v7 offset:17088                           // 000000027534: D86C42C0 43000007
	ds_read_b32 v68, v7 offset:17152                           // 00000002753C: D86C4300 44000007
	ds_read_b32 v69, v7 offset:17216                           // 000000027544: D86C4340 45000007
	ds_read_b32 v70, v7 offset:17280                           // 00000002754C: D86C4380 46000007
	ds_read_b32 v71, v7 offset:17344                           // 000000027554: D86C43C0 47000007
	ds_read_b32 v72, v7 offset:17408                           // 00000002755C: D86C4400 48000007
	ds_read_b32 v73, v7 offset:17472                           // 000000027564: D86C4440 49000007
	ds_read_b32 v74, v7 offset:17536                           // 00000002756C: D86C4480 4A000007
	ds_read_b32 v75, v7 offset:17600                           // 000000027574: D86C44C0 4B000007
	ds_read_b32 v76, v7 offset:17664                           // 00000002757C: D86C4500 4C000007
	ds_read_b32 v77, v7 offset:17728                           // 000000027584: D86C4540 4D000007
	ds_read_b32 v78, v7 offset:17792                           // 00000002758C: D86C4580 4E000007
	ds_read_b32 v79, v7 offset:17856                           // 000000027594: D86C45C0 4F000007
	s_waitcnt lgkmcnt(0)                                       // 00000002759C: BF8CC07F
	v_mov_b32_e32 v40, 0                                       // 0000000275A0: 7E500280
	v_add_f32_e32 v40, v64, v40                                // 0000000275A4: 02505140
	v_add_f32_e32 v40, v65, v40                                // 0000000275A8: 02505141
	v_add_f32_e32 v40, v66, v40                                // 0000000275AC: 02505142
	v_add_f32_e32 v40, v67, v40                                // 0000000275B0: 02505143
	v_add_f32_e32 v40, v68, v40                                // 0000000275B4: 02505144
	v_add_f32_e32 v40, v69, v40                                // 0000000275B8: 02505145
	v_add_f32_e32 v40, v70, v40                                // 0000000275BC: 02505146
	v_add_f32_e32 v40, v71, v40                                // 0000000275C0: 02505147
	v_add_f32_e32 v40, v72, v40                                // 0000000275C4: 02505148
	v_add_f32_e32 v40, v73, v40                                // 0000000275C8: 02505149
	v_add_f32_e32 v40, v74, v40                                // 0000000275CC: 0250514A
	v_add_f32_e32 v40, v75, v40                                // 0000000275D0: 0250514B
	v_add_f32_e32 v40, v76, v40                                // 0000000275D4: 0250514C
	v_add_f32_e32 v40, v77, v40                                // 0000000275D8: 0250514D
	v_add_f32_e32 v40, v78, v40                                // 0000000275DC: 0250514E
	v_add_f32_e32 v40, v79, v40                                // 0000000275E0: 0250514F
	s_nop 1                                                    // 0000000275E4: BF800001
	v_rcp_f32_e32 v40, v40                                     // 0000000275E8: 7E504528
	s_nop 1                                                    // 0000000275EC: BF800001
	v_mul_f32_e32 v224, v40, v224                              // 0000000275F0: 0BC1C128
	v_mul_f32_e32 v225, v40, v225                              // 0000000275F4: 0BC3C328
	v_mul_f32_e32 v226, v40, v226                              // 0000000275F8: 0BC5C528
	v_mul_f32_e32 v227, v40, v227                              // 0000000275FC: 0BC7C728
	v_mul_f32_e32 v228, v40, v228                              // 000000027600: 0BC9C928
	v_mul_f32_e32 v229, v40, v229                              // 000000027604: 0BCBCB28
	v_mul_f32_e32 v230, v40, v230                              // 000000027608: 0BCDCD28
	v_mul_f32_e32 v231, v40, v231                              // 00000002760C: 0BCFCF28
	v_mov_b32_e32 v19, 0xffff0000                              // 000000027610: 7E2602FF FFFF0000
	v_mov_b32_e32 v20, 0x7fff0000                              // 000000027618: 7E2802FF 7FFF0000
	v_mov_b32_e32 v21, 0x7fff                                  // 000000027620: 7E2A02FF 00007FFF
	v_cmp_u_f32_e64 s[40:41], v224, v224                       // 000000027628: D0480028 0003C1E0
	v_add3_u32 v18, v224, v21, 1                               // 000000027630: D1FF0012 02062BE0
	v_cndmask_b32_e64 v64, v18, v20, s[40:41]                  // 000000027638: D1000040 00A22912
	v_cmp_u_f32_e64 s[40:41], v225, v225                       // 000000027640: D0480028 0003C3E1
	v_add3_u32 v18, v225, v21, 1                               // 000000027648: D1FF0012 02062BE1
	v_cndmask_b32_e64 v65, v18, v20, s[40:41]                  // 000000027650: D1000041 00A22912
	v_perm_b32 v224, v65, v64, s52                             // 000000027658: D1ED00E0 00D28141
	v_cmp_u_f32_e64 s[40:41], v226, v226                       // 000000027660: D0480028 0003C5E2
	v_add3_u32 v18, v226, v21, 1                               // 000000027668: D1FF0012 02062BE2
	v_cndmask_b32_e64 v64, v18, v20, s[40:41]                  // 000000027670: D1000040 00A22912
	v_cmp_u_f32_e64 s[40:41], v227, v227                       // 000000027678: D0480028 0003C7E3
	v_add3_u32 v18, v227, v21, 1                               // 000000027680: D1FF0012 02062BE3
	v_cndmask_b32_e64 v65, v18, v20, s[40:41]                  // 000000027688: D1000041 00A22912
	v_perm_b32 v225, v65, v64, s52                             // 000000027690: D1ED00E1 00D28141
	v_cmp_u_f32_e64 s[40:41], v228, v228                       // 000000027698: D0480028 0003C9E4
	v_add3_u32 v18, v228, v21, 1                               // 0000000276A0: D1FF0012 02062BE4
	v_cndmask_b32_e64 v64, v18, v20, s[40:41]                  // 0000000276A8: D1000040 00A22912
	v_cmp_u_f32_e64 s[40:41], v229, v229                       // 0000000276B0: D0480028 0003CBE5
	v_add3_u32 v18, v229, v21, 1                               // 0000000276B8: D1FF0012 02062BE5
	v_cndmask_b32_e64 v65, v18, v20, s[40:41]                  // 0000000276C0: D1000041 00A22912
	v_perm_b32 v226, v65, v64, s52                             // 0000000276C8: D1ED00E2 00D28141
	v_cmp_u_f32_e64 s[40:41], v230, v230                       // 0000000276D0: D0480028 0003CDE6
	v_add3_u32 v18, v230, v21, 1                               // 0000000276D8: D1FF0012 02062BE6
	v_cndmask_b32_e64 v64, v18, v20, s[40:41]                  // 0000000276E0: D1000040 00A22912
	v_cmp_u_f32_e64 s[40:41], v231, v231                       // 0000000276E8: D0480028 0003CFE7
	v_add3_u32 v18, v231, v21, 1                               // 0000000276F0: D1FF0012 02062BE7
	v_cndmask_b32_e64 v65, v18, v20, s[40:41]                  // 0000000276F8: D1000041 00A22912
	v_perm_b32 v227, v65, v64, s52                             // 000000027700: D1ED00E3 00D28141
	s_nop 1                                                    // 000000027708: BF800001
	v_lshrrev_b32_e32 v64, 4, v0                               // 00000002770C: 20800084
	v_mul_i32_i24_e32 v68, 34, v64                             // 000000027710: 0C8880A2
	v_and_b32_e32 v64, 15, v0                                  // 000000027714: 2680008F
	v_mul_i32_i24_e32 v65, 2, v64                              // 000000027718: 0C828082
	v_add_u32_e32 v68, v65, v68                                // 00000002771C: 68888941
	s_mul_i32 s60, s7, 0x88                                    // 000000027720: 923CFF07 00000088
	v_add_u32_e32 v68, s60, v68                                // 000000027728: 6888883C
	v_lshlrev_b32_e32 v68, 2, v68                              // 00000002772C: 24888882
	ds_write_b64 v68, v[224:225] offset:41472                  // 000000027730: D89AA200 0000E044
	ds_write_b64 v68, v[226:227] offset:43648                  // 000000027738: D89AAA80 0000E244
	v_lshrrev_b32_e32 v64, 1, v0                               // 000000027740: 20800081
	v_mul_i32_i24_e32 v68, 34, v64                             // 000000027744: 0C8880A2
	v_and_b32_e32 v65, 1, v0                                   // 000000027748: 26820081
	v_add_u32_e32 v68, v65, v68                                // 00000002774C: 68888941
	s_mul_i32 s60, s7, 2                                       // 000000027750: 923C8207
	v_add_u32_e32 v68, s60, v68                                // 000000027754: 6888883C
	v_lshlrev_b32_e32 v68, 2, v68                              // 000000027758: 24888882
	s_waitcnt lgkmcnt(0)                                       // 00000002775C: BF8CC07F
	s_barrier                                                  // 000000027760: BF8A0000
	ds_read_b32 v224, v68 offset:41472                         // 000000027764: D86CA200 E0000044
	ds_read_b32 v225, v68 offset:41504                         // 00000002776C: D86CA220 E1000044
	ds_read_b32 v226, v68 offset:41536                         // 000000027774: D86CA240 E2000044
	ds_read_b32 v227, v68 offset:41568                         // 00000002777C: D86CA260 E3000044
	s_mul_i32 s60, s7, 0x100                                   // 000000027784: 923CFF07 00000100
	v_lshlrev_b32_e32 v64, 2, v0                               // 00000002778C: 24800082
	v_add_u32_e64 v64, v64, s60                                // 000000027790: D1340040 00007940
	s_waitcnt lgkmcnt(0)                                       // 000000027798: BF8CC07F
	buffer_store_dword v224, v64, s[8:11], 0 offen             // 00000002779C: E0701000 8002E040
	buffer_store_dword v225, v64, s[8:11], 0 offen offset:1024 // 0000000277A4: E0701400 8002E140
	buffer_store_dword v226, v64, s[8:11], 0 offen offset:2048 // 0000000277AC: E0701800 8002E240
	buffer_store_dword v227, v64, s[8:11], 0 offen offset:3072 // 0000000277B4: E0701C00 8002E340
	s_add_u32 s8, s75, s8                                      // 0000000277BC: 8008084B
	s_addc_u32 s9, 0, s9                                       // 0000000277C0: 82090980
	v_mul_f32_e32 v232, v52, v232                              // 0000000277C4: 0BD1D134
	v_mul_f32_e32 v233, v52, v233                              // 0000000277C8: 0BD3D334
	v_mul_f32_e32 v234, v52, v234                              // 0000000277CC: 0BD5D534
	v_mul_f32_e32 v235, v52, v235                              // 0000000277D0: 0BD7D734
	v_mul_f32_e32 v236, v52, v236                              // 0000000277D4: 0BD9D934
	v_mul_f32_e32 v237, v52, v237                              // 0000000277D8: 0BDBDB34
	v_mul_f32_e32 v238, v52, v238                              // 0000000277DC: 0BDDDD34
	v_mul_f32_e32 v239, v52, v239                              // 0000000277E0: 0BDFDF34
	v_mul_f32_e32 v200, v47, v200                              // 0000000277E4: 0B91912F
	v_mul_f32_e32 v201, v47, v201                              // 0000000277E8: 0B93932F
	v_mul_f32_e32 v202, v47, v202                              // 0000000277EC: 0B95952F
	v_mul_f32_e32 v203, v47, v203                              // 0000000277F0: 0B97972F
	v_mul_f32_e32 v204, v47, v204                              // 0000000277F4: 0B99992F
	v_mul_f32_e32 v205, v47, v205                              // 0000000277F8: 0B9B9B2F
	v_mul_f32_e32 v206, v47, v206                              // 0000000277FC: 0B9D9D2F
	v_mul_f32_e32 v207, v47, v207                              // 000000027800: 0B9F9F2F
	v_add_f32_e32 v232, v232, v200                             // 000000027804: 03D191E8
	v_add_f32_e32 v233, v233, v201                             // 000000027808: 03D393E9
	v_add_f32_e32 v234, v234, v202                             // 00000002780C: 03D595EA
	v_add_f32_e32 v235, v235, v203                             // 000000027810: 03D797EB
	v_add_f32_e32 v236, v236, v204                             // 000000027814: 03D999EC
	v_add_f32_e32 v237, v237, v205                             // 000000027818: 03DB9BED
	v_add_f32_e32 v238, v238, v206                             // 00000002781C: 03DD9DEE
	v_add_f32_e32 v239, v239, v207                             // 000000027820: 03DF9FEF
	ds_write_b32 v8, v41 offset:16896                          // 000000027824: D81A4200 00002908
	s_waitcnt lgkmcnt(0)                                       // 00000002782C: BF8CC07F
	s_barrier                                                  // 000000027830: BF8A0000
	ds_read_b32 v64, v7 offset:16896                           // 000000027834: D86C4200 40000007
	ds_read_b32 v65, v7 offset:16960                           // 00000002783C: D86C4240 41000007
	ds_read_b32 v66, v7 offset:17024                           // 000000027844: D86C4280 42000007
	ds_read_b32 v67, v7 offset:17088                           // 00000002784C: D86C42C0 43000007
	ds_read_b32 v68, v7 offset:17152                           // 000000027854: D86C4300 44000007
	ds_read_b32 v69, v7 offset:17216                           // 00000002785C: D86C4340 45000007
	ds_read_b32 v70, v7 offset:17280                           // 000000027864: D86C4380 46000007
	ds_read_b32 v71, v7 offset:17344                           // 00000002786C: D86C43C0 47000007
	ds_read_b32 v72, v7 offset:17408                           // 000000027874: D86C4400 48000007
	ds_read_b32 v73, v7 offset:17472                           // 00000002787C: D86C4440 49000007
	ds_read_b32 v74, v7 offset:17536                           // 000000027884: D86C4480 4A000007
	ds_read_b32 v75, v7 offset:17600                           // 00000002788C: D86C44C0 4B000007
	ds_read_b32 v76, v7 offset:17664                           // 000000027894: D86C4500 4C000007
	ds_read_b32 v77, v7 offset:17728                           // 00000002789C: D86C4540 4D000007
	ds_read_b32 v78, v7 offset:17792                           // 0000000278A4: D86C4580 4E000007
	ds_read_b32 v79, v7 offset:17856                           // 0000000278AC: D86C45C0 4F000007
	s_waitcnt lgkmcnt(0)                                       // 0000000278B4: BF8CC07F
	v_mov_b32_e32 v41, 0                                       // 0000000278B8: 7E520280
	v_add_f32_e32 v41, v64, v41                                // 0000000278BC: 02525340
	v_add_f32_e32 v41, v65, v41                                // 0000000278C0: 02525341
	v_add_f32_e32 v41, v66, v41                                // 0000000278C4: 02525342
	v_add_f32_e32 v41, v67, v41                                // 0000000278C8: 02525343
	v_add_f32_e32 v41, v68, v41                                // 0000000278CC: 02525344
	v_add_f32_e32 v41, v69, v41                                // 0000000278D0: 02525345
	v_add_f32_e32 v41, v70, v41                                // 0000000278D4: 02525346
	v_add_f32_e32 v41, v71, v41                                // 0000000278D8: 02525347
	v_add_f32_e32 v41, v72, v41                                // 0000000278DC: 02525348
	v_add_f32_e32 v41, v73, v41                                // 0000000278E0: 02525349
	v_add_f32_e32 v41, v74, v41                                // 0000000278E4: 0252534A
	v_add_f32_e32 v41, v75, v41                                // 0000000278E8: 0252534B
	v_add_f32_e32 v41, v76, v41                                // 0000000278EC: 0252534C
	v_add_f32_e32 v41, v77, v41                                // 0000000278F0: 0252534D
	v_add_f32_e32 v41, v78, v41                                // 0000000278F4: 0252534E
	v_add_f32_e32 v41, v79, v41                                // 0000000278F8: 0252534F
	s_nop 1                                                    // 0000000278FC: BF800001
	v_rcp_f32_e32 v41, v41                                     // 000000027900: 7E524529
	s_nop 1                                                    // 000000027904: BF800001
	v_mul_f32_e32 v232, v41, v232                              // 000000027908: 0BD1D129
	v_mul_f32_e32 v233, v41, v233                              // 00000002790C: 0BD3D329
	v_mul_f32_e32 v234, v41, v234                              // 000000027910: 0BD5D529
	v_mul_f32_e32 v235, v41, v235                              // 000000027914: 0BD7D729
	v_mul_f32_e32 v236, v41, v236                              // 000000027918: 0BD9D929
	v_mul_f32_e32 v237, v41, v237                              // 00000002791C: 0BDBDB29
	v_mul_f32_e32 v238, v41, v238                              // 000000027920: 0BDDDD29
	v_mul_f32_e32 v239, v41, v239                              // 000000027924: 0BDFDF29
	v_mov_b32_e32 v19, 0xffff0000                              // 000000027928: 7E2602FF FFFF0000
	v_mov_b32_e32 v20, 0x7fff0000                              // 000000027930: 7E2802FF 7FFF0000
	v_mov_b32_e32 v21, 0x7fff                                  // 000000027938: 7E2A02FF 00007FFF
	v_cmp_u_f32_e64 s[40:41], v232, v232                       // 000000027940: D0480028 0003D1E8
	v_add3_u32 v18, v232, v21, 1                               // 000000027948: D1FF0012 02062BE8
	v_cndmask_b32_e64 v64, v18, v20, s[40:41]                  // 000000027950: D1000040 00A22912
	v_cmp_u_f32_e64 s[40:41], v233, v233                       // 000000027958: D0480028 0003D3E9
	v_add3_u32 v18, v233, v21, 1                               // 000000027960: D1FF0012 02062BE9
	v_cndmask_b32_e64 v65, v18, v20, s[40:41]                  // 000000027968: D1000041 00A22912
	v_perm_b32 v232, v65, v64, s52                             // 000000027970: D1ED00E8 00D28141
	v_cmp_u_f32_e64 s[40:41], v234, v234                       // 000000027978: D0480028 0003D5EA
	v_add3_u32 v18, v234, v21, 1                               // 000000027980: D1FF0012 02062BEA
	v_cndmask_b32_e64 v64, v18, v20, s[40:41]                  // 000000027988: D1000040 00A22912
	v_cmp_u_f32_e64 s[40:41], v235, v235                       // 000000027990: D0480028 0003D7EB
	v_add3_u32 v18, v235, v21, 1                               // 000000027998: D1FF0012 02062BEB
	v_cndmask_b32_e64 v65, v18, v20, s[40:41]                  // 0000000279A0: D1000041 00A22912
	v_perm_b32 v233, v65, v64, s52                             // 0000000279A8: D1ED00E9 00D28141
	v_cmp_u_f32_e64 s[40:41], v236, v236                       // 0000000279B0: D0480028 0003D9EC
	v_add3_u32 v18, v236, v21, 1                               // 0000000279B8: D1FF0012 02062BEC
	v_cndmask_b32_e64 v64, v18, v20, s[40:41]                  // 0000000279C0: D1000040 00A22912
	v_cmp_u_f32_e64 s[40:41], v237, v237                       // 0000000279C8: D0480028 0003DBED
	v_add3_u32 v18, v237, v21, 1                               // 0000000279D0: D1FF0012 02062BED
	v_cndmask_b32_e64 v65, v18, v20, s[40:41]                  // 0000000279D8: D1000041 00A22912
	v_perm_b32 v234, v65, v64, s52                             // 0000000279E0: D1ED00EA 00D28141
	v_cmp_u_f32_e64 s[40:41], v238, v238                       // 0000000279E8: D0480028 0003DDEE
	v_add3_u32 v18, v238, v21, 1                               // 0000000279F0: D1FF0012 02062BEE
	v_cndmask_b32_e64 v64, v18, v20, s[40:41]                  // 0000000279F8: D1000040 00A22912
	v_cmp_u_f32_e64 s[40:41], v239, v239                       // 000000027A00: D0480028 0003DFEF
	v_add3_u32 v18, v239, v21, 1                               // 000000027A08: D1FF0012 02062BEF
	v_cndmask_b32_e64 v65, v18, v20, s[40:41]                  // 000000027A10: D1000041 00A22912
	v_perm_b32 v235, v65, v64, s52                             // 000000027A18: D1ED00EB 00D28141
	s_nop 1                                                    // 000000027A20: BF800001
	v_lshrrev_b32_e32 v64, 4, v0                               // 000000027A24: 20800084
	v_mul_i32_i24_e32 v68, 34, v64                             // 000000027A28: 0C8880A2
	v_and_b32_e32 v64, 15, v0                                  // 000000027A2C: 2680008F
	v_mul_i32_i24_e32 v65, 2, v64                              // 000000027A30: 0C828082
	v_add_u32_e32 v68, v65, v68                                // 000000027A34: 68888941
	s_mul_i32 s60, s7, 0x88                                    // 000000027A38: 923CFF07 00000088
	v_add_u32_e32 v68, s60, v68                                // 000000027A40: 6888883C
	v_lshlrev_b32_e32 v68, 2, v68                              // 000000027A44: 24888882
	ds_write_b64 v68, v[232:233] offset:41472                  // 000000027A48: D89AA200 0000E844
	ds_write_b64 v68, v[234:235] offset:43648                  // 000000027A50: D89AAA80 0000EA44
	v_lshrrev_b32_e32 v64, 1, v0                               // 000000027A58: 20800081
	v_mul_i32_i24_e32 v68, 34, v64                             // 000000027A5C: 0C8880A2
	v_and_b32_e32 v65, 1, v0                                   // 000000027A60: 26820081
	v_add_u32_e32 v68, v65, v68                                // 000000027A64: 68888941
	s_mul_i32 s60, s7, 2                                       // 000000027A68: 923C8207
	v_add_u32_e32 v68, s60, v68                                // 000000027A6C: 6888883C
	v_lshlrev_b32_e32 v68, 2, v68                              // 000000027A70: 24888882
	s_waitcnt lgkmcnt(0)                                       // 000000027A74: BF8CC07F
	s_barrier                                                  // 000000027A78: BF8A0000
	ds_read_b32 v232, v68 offset:41472                         // 000000027A7C: D86CA200 E8000044
	ds_read_b32 v233, v68 offset:41504                         // 000000027A84: D86CA220 E9000044
	ds_read_b32 v234, v68 offset:41536                         // 000000027A8C: D86CA240 EA000044
	ds_read_b32 v235, v68 offset:41568                         // 000000027A94: D86CA260 EB000044
	s_mul_i32 s60, s7, 0x100                                   // 000000027A9C: 923CFF07 00000100
	v_lshlrev_b32_e32 v64, 2, v0                               // 000000027AA4: 24800082
	v_add_u32_e64 v64, v64, s60                                // 000000027AA8: D1340040 00007940
	s_waitcnt lgkmcnt(0)                                       // 000000027AB0: BF8CC07F
	buffer_store_dword v232, v64, s[8:11], 0 offen             // 000000027AB4: E0701000 8002E840
	buffer_store_dword v233, v64, s[8:11], 0 offen offset:1024 // 000000027ABC: E0701400 8002E940
	buffer_store_dword v234, v64, s[8:11], 0 offen offset:2048 // 000000027AC4: E0701800 8002EA40
	buffer_store_dword v235, v64, s[8:11], 0 offen offset:3072 // 000000027ACC: E0701C00 8002EB40
	s_add_u32 s8, s75, s8                                      // 000000027AD4: 8008084B
	s_addc_u32 s9, 0, s9                                       // 000000027AD8: 82090980
	s_branch label_9638                                        // 000000027ADC: BF820000

0000000000027ae0 <label_9638>:
	s_waitcnt vmcnt(0) expcnt(0) lgkmcnt(0)                    // 000000027AE0: BF8C0000
	s_endpgm                                                   // 000000027AE4: BF810000
